;; amdgpu-corpus repo=ROCm/rocFFT kind=compiled arch=gfx906 opt=O3
	.text
	.amdgcn_target "amdgcn-amd-amdhsa--gfx906"
	.amdhsa_code_object_version 6
	.protected	fft_rtc_fwd_len272_factors_16_17_wgs_119_tpt_17_halfLds_dp_op_CI_CI_sbrr_dirReg ; -- Begin function fft_rtc_fwd_len272_factors_16_17_wgs_119_tpt_17_halfLds_dp_op_CI_CI_sbrr_dirReg
	.globl	fft_rtc_fwd_len272_factors_16_17_wgs_119_tpt_17_halfLds_dp_op_CI_CI_sbrr_dirReg
	.p2align	8
	.type	fft_rtc_fwd_len272_factors_16_17_wgs_119_tpt_17_halfLds_dp_op_CI_CI_sbrr_dirReg,@function
fft_rtc_fwd_len272_factors_16_17_wgs_119_tpt_17_halfLds_dp_op_CI_CI_sbrr_dirReg: ; @fft_rtc_fwd_len272_factors_16_17_wgs_119_tpt_17_halfLds_dp_op_CI_CI_sbrr_dirReg
; %bb.0:
	s_load_dwordx4 s[16:19], s[4:5], 0x18
	s_load_dwordx4 s[12:15], s[4:5], 0x0
	;; [unrolled: 1-line block ×3, first 2 shown]
	v_mul_u32_u24_e32 v1, 0xf10, v0
	v_lshrrev_b32_e32 v1, 16, v1
	s_waitcnt lgkmcnt(0)
	s_load_dwordx2 s[20:21], s[16:17], 0x0
	s_load_dwordx2 s[2:3], s[18:19], 0x0
	v_mad_u64_u32 v[1:2], s[0:1], s6, 7, v[1:2]
	v_mov_b32_e32 v3, 0
	v_mov_b32_e32 v6, 0
	;; [unrolled: 1-line block ×3, first 2 shown]
	v_cmp_lt_u64_e64 s[0:1], s[14:15], 2
	v_mov_b32_e32 v7, 0
	v_mov_b32_e32 v99, v7
	;; [unrolled: 1-line block ×3, first 2 shown]
	s_and_b64 vcc, exec, s[0:1]
	v_mov_b32_e32 v98, v6
	v_mov_b32_e32 v100, v1
	s_cbranch_vccnz .LBB0_8
; %bb.1:
	s_load_dwordx2 s[0:1], s[4:5], 0x10
	s_add_u32 s6, s18, 8
	s_addc_u32 s7, s19, 0
	s_add_u32 s22, s16, 8
	v_mov_b32_e32 v6, 0
	s_addc_u32 s23, s17, 0
	v_mov_b32_e32 v7, 0
	s_waitcnt lgkmcnt(0)
	s_add_u32 s24, s0, 8
	v_mov_b32_e32 v99, v7
	v_mov_b32_e32 v9, v2
	s_addc_u32 s25, s1, 0
	s_mov_b64 s[26:27], 1
	v_mov_b32_e32 v98, v6
	v_mov_b32_e32 v8, v1
.LBB0_2:                                ; =>This Inner Loop Header: Depth=1
	s_load_dwordx2 s[28:29], s[24:25], 0x0
                                        ; implicit-def: $vgpr100_vgpr101
	s_waitcnt lgkmcnt(0)
	v_or_b32_e32 v4, s29, v9
	v_cmp_ne_u64_e32 vcc, 0, v[3:4]
	s_and_saveexec_b64 s[0:1], vcc
	s_xor_b64 s[30:31], exec, s[0:1]
	s_cbranch_execz .LBB0_4
; %bb.3:                                ;   in Loop: Header=BB0_2 Depth=1
	v_cvt_f32_u32_e32 v2, s28
	v_cvt_f32_u32_e32 v4, s29
	s_sub_u32 s0, 0, s28
	s_subb_u32 s1, 0, s29
	v_mac_f32_e32 v2, 0x4f800000, v4
	v_rcp_f32_e32 v2, v2
	v_mul_f32_e32 v2, 0x5f7ffffc, v2
	v_mul_f32_e32 v4, 0x2f800000, v2
	v_trunc_f32_e32 v4, v4
	v_mac_f32_e32 v2, 0xcf800000, v4
	v_cvt_u32_f32_e32 v4, v4
	v_cvt_u32_f32_e32 v2, v2
	v_mul_lo_u32 v5, s0, v4
	v_mul_hi_u32 v10, s0, v2
	v_mul_lo_u32 v12, s1, v2
	v_mul_lo_u32 v11, s0, v2
	v_add_u32_e32 v5, v10, v5
	v_add_u32_e32 v5, v5, v12
	v_mul_hi_u32 v10, v2, v11
	v_mul_lo_u32 v12, v2, v5
	v_mul_hi_u32 v14, v2, v5
	v_mul_hi_u32 v13, v4, v11
	v_mul_lo_u32 v11, v4, v11
	v_mul_hi_u32 v15, v4, v5
	v_add_co_u32_e32 v10, vcc, v10, v12
	v_addc_co_u32_e32 v12, vcc, 0, v14, vcc
	v_mul_lo_u32 v5, v4, v5
	v_add_co_u32_e32 v10, vcc, v10, v11
	v_addc_co_u32_e32 v10, vcc, v12, v13, vcc
	v_addc_co_u32_e32 v11, vcc, 0, v15, vcc
	v_add_co_u32_e32 v5, vcc, v10, v5
	v_addc_co_u32_e32 v10, vcc, 0, v11, vcc
	v_add_co_u32_e32 v2, vcc, v2, v5
	v_addc_co_u32_e32 v4, vcc, v4, v10, vcc
	v_mul_lo_u32 v5, s0, v4
	v_mul_hi_u32 v10, s0, v2
	v_mul_lo_u32 v11, s1, v2
	v_mul_lo_u32 v12, s0, v2
	v_add_u32_e32 v5, v10, v5
	v_add_u32_e32 v5, v5, v11
	v_mul_lo_u32 v13, v2, v5
	v_mul_hi_u32 v14, v2, v12
	v_mul_hi_u32 v15, v2, v5
	;; [unrolled: 1-line block ×3, first 2 shown]
	v_mul_lo_u32 v12, v4, v12
	v_mul_hi_u32 v10, v4, v5
	v_add_co_u32_e32 v13, vcc, v14, v13
	v_addc_co_u32_e32 v14, vcc, 0, v15, vcc
	v_mul_lo_u32 v5, v4, v5
	v_add_co_u32_e32 v12, vcc, v13, v12
	v_addc_co_u32_e32 v11, vcc, v14, v11, vcc
	v_addc_co_u32_e32 v10, vcc, 0, v10, vcc
	v_add_co_u32_e32 v5, vcc, v11, v5
	v_addc_co_u32_e32 v10, vcc, 0, v10, vcc
	v_add_co_u32_e32 v2, vcc, v2, v5
	v_addc_co_u32_e32 v10, vcc, v4, v10, vcc
	v_mad_u64_u32 v[4:5], s[0:1], v8, v10, 0
	v_mul_hi_u32 v11, v8, v2
	v_add_co_u32_e32 v12, vcc, v11, v4
	v_addc_co_u32_e32 v13, vcc, 0, v5, vcc
	v_mad_u64_u32 v[4:5], s[0:1], v9, v2, 0
	v_mad_u64_u32 v[10:11], s[0:1], v9, v10, 0
	v_add_co_u32_e32 v2, vcc, v12, v4
	v_addc_co_u32_e32 v2, vcc, v13, v5, vcc
	v_addc_co_u32_e32 v4, vcc, 0, v11, vcc
	v_add_co_u32_e32 v2, vcc, v2, v10
	v_addc_co_u32_e32 v10, vcc, 0, v4, vcc
	v_mul_lo_u32 v11, s29, v2
	v_mul_lo_u32 v12, s28, v10
	v_mad_u64_u32 v[4:5], s[0:1], s28, v2, 0
	v_add3_u32 v5, v5, v12, v11
	v_sub_u32_e32 v11, v9, v5
	v_mov_b32_e32 v12, s29
	v_sub_co_u32_e32 v4, vcc, v8, v4
	v_subb_co_u32_e64 v11, s[0:1], v11, v12, vcc
	v_subrev_co_u32_e64 v12, s[0:1], s28, v4
	v_subbrev_co_u32_e64 v11, s[0:1], 0, v11, s[0:1]
	v_cmp_le_u32_e64 s[0:1], s29, v11
	v_cndmask_b32_e64 v13, 0, -1, s[0:1]
	v_cmp_le_u32_e64 s[0:1], s28, v12
	v_cndmask_b32_e64 v12, 0, -1, s[0:1]
	v_cmp_eq_u32_e64 s[0:1], s29, v11
	v_cndmask_b32_e64 v11, v13, v12, s[0:1]
	v_add_co_u32_e64 v12, s[0:1], 2, v2
	v_addc_co_u32_e64 v13, s[0:1], 0, v10, s[0:1]
	v_add_co_u32_e64 v14, s[0:1], 1, v2
	v_addc_co_u32_e64 v15, s[0:1], 0, v10, s[0:1]
	v_subb_co_u32_e32 v5, vcc, v9, v5, vcc
	v_cmp_ne_u32_e64 s[0:1], 0, v11
	v_cmp_le_u32_e32 vcc, s29, v5
	v_cndmask_b32_e64 v11, v15, v13, s[0:1]
	v_cndmask_b32_e64 v13, 0, -1, vcc
	v_cmp_le_u32_e32 vcc, s28, v4
	v_cndmask_b32_e64 v4, 0, -1, vcc
	v_cmp_eq_u32_e32 vcc, s29, v5
	v_cndmask_b32_e32 v4, v13, v4, vcc
	v_cmp_ne_u32_e32 vcc, 0, v4
	v_cndmask_b32_e64 v4, v14, v12, s[0:1]
	v_cndmask_b32_e32 v101, v10, v11, vcc
	v_cndmask_b32_e32 v100, v2, v4, vcc
.LBB0_4:                                ;   in Loop: Header=BB0_2 Depth=1
	s_andn2_saveexec_b64 s[0:1], s[30:31]
	s_cbranch_execz .LBB0_6
; %bb.5:                                ;   in Loop: Header=BB0_2 Depth=1
	v_cvt_f32_u32_e32 v2, s28
	s_sub_i32 s30, 0, s28
	v_mov_b32_e32 v101, v3
	v_rcp_iflag_f32_e32 v2, v2
	v_mul_f32_e32 v2, 0x4f7ffffe, v2
	v_cvt_u32_f32_e32 v2, v2
	v_mul_lo_u32 v4, s30, v2
	v_mul_hi_u32 v4, v2, v4
	v_add_u32_e32 v2, v2, v4
	v_mul_hi_u32 v2, v8, v2
	v_mul_lo_u32 v4, v2, s28
	v_add_u32_e32 v5, 1, v2
	v_sub_u32_e32 v4, v8, v4
	v_subrev_u32_e32 v10, s28, v4
	v_cmp_le_u32_e32 vcc, s28, v4
	v_cndmask_b32_e32 v4, v4, v10, vcc
	v_cndmask_b32_e32 v2, v2, v5, vcc
	v_add_u32_e32 v5, 1, v2
	v_cmp_le_u32_e32 vcc, s28, v4
	v_cndmask_b32_e32 v100, v2, v5, vcc
.LBB0_6:                                ;   in Loop: Header=BB0_2 Depth=1
	s_or_b64 exec, exec, s[0:1]
	v_mul_lo_u32 v2, v101, s28
	v_mul_lo_u32 v10, v100, s29
	v_mad_u64_u32 v[4:5], s[0:1], v100, s28, 0
	s_load_dwordx2 s[0:1], s[22:23], 0x0
	s_load_dwordx2 s[28:29], s[6:7], 0x0
	v_add3_u32 v2, v5, v10, v2
	v_sub_co_u32_e32 v4, vcc, v8, v4
	v_subb_co_u32_e32 v2, vcc, v9, v2, vcc
	s_waitcnt lgkmcnt(0)
	v_mul_lo_u32 v5, s0, v2
	v_mul_lo_u32 v8, s1, v4
	v_mad_u64_u32 v[6:7], s[0:1], s0, v4, v[6:7]
	s_add_u32 s26, s26, 1
	s_addc_u32 s27, s27, 0
	s_add_u32 s6, s6, 8
	v_mul_lo_u32 v2, s28, v2
	v_mul_lo_u32 v9, s29, v4
	v_mad_u64_u32 v[98:99], s[0:1], s28, v4, v[98:99]
	v_add3_u32 v7, v8, v7, v5
	s_addc_u32 s7, s7, 0
	v_mov_b32_e32 v4, s14
	s_add_u32 s22, s22, 8
	v_mov_b32_e32 v5, s15
	s_addc_u32 s23, s23, 0
	v_cmp_ge_u64_e32 vcc, s[26:27], v[4:5]
	s_add_u32 s24, s24, 8
	v_add3_u32 v99, v9, v99, v2
	s_addc_u32 s25, s25, 0
	s_cbranch_vccnz .LBB0_8
; %bb.7:                                ;   in Loop: Header=BB0_2 Depth=1
	v_mov_b32_e32 v8, v100
	v_mov_b32_e32 v9, v101
	s_branch .LBB0_2
.LBB0_8:
	s_load_dwordx2 s[0:1], s[4:5], 0x28
	s_lshl_b64 s[14:15], s[14:15], 3
	s_add_u32 s4, s18, s14
	s_addc_u32 s5, s19, s15
                                        ; implicit-def: $vgpr180
	s_waitcnt lgkmcnt(0)
	v_cmp_gt_u64_e32 vcc, s[0:1], v[100:101]
	v_cmp_le_u64_e64 s[0:1], s[0:1], v[100:101]
	s_and_saveexec_b64 s[6:7], s[0:1]
	s_xor_b64 s[0:1], exec, s[6:7]
; %bb.9:
	s_mov_b32 s6, 0xf0f0f10
	v_mul_hi_u32 v2, v0, s6
                                        ; implicit-def: $vgpr6_vgpr7
	v_mul_u32_u24_e32 v2, 17, v2
	v_sub_u32_e32 v180, v0, v2
                                        ; implicit-def: $vgpr0
; %bb.10:
	s_or_saveexec_b64 s[6:7], s[0:1]
                                        ; implicit-def: $vgpr16_vgpr17
                                        ; implicit-def: $vgpr24_vgpr25
                                        ; implicit-def: $vgpr8_vgpr9
                                        ; implicit-def: $vgpr40_vgpr41
                                        ; implicit-def: $vgpr20_vgpr21
                                        ; implicit-def: $vgpr12_vgpr13
                                        ; implicit-def: $vgpr44_vgpr45
                                        ; implicit-def: $vgpr56_vgpr57
                                        ; implicit-def: $vgpr28_vgpr29
                                        ; implicit-def: $vgpr60_vgpr61
                                        ; implicit-def: $vgpr36_vgpr37
                                        ; implicit-def: $vgpr64_vgpr65
                                        ; implicit-def: $vgpr32_vgpr33
                                        ; implicit-def: $vgpr52_vgpr53
                                        ; implicit-def: $vgpr48_vgpr49
                                        ; implicit-def: $vgpr4_vgpr5
	s_xor_b64 exec, exec, s[6:7]
	s_cbranch_execz .LBB0_12
; %bb.11:
	s_add_u32 s0, s16, s14
	s_mov_b32 s14, 0xf0f0f10
	v_mul_hi_u32 v2, v0, s14
	s_addc_u32 s1, s17, s15
	s_load_dwordx2 s[0:1], s[0:1], 0x0
	v_mul_u32_u24_e32 v2, 17, v2
	v_sub_u32_e32 v180, v0, v2
	v_mad_u64_u32 v[2:3], s[14:15], s20, v180, 0
	s_waitcnt lgkmcnt(0)
	v_mul_lo_u32 v10, s1, v100
	v_mul_lo_u32 v11, s0, v101
	v_mad_u64_u32 v[4:5], s[0:1], s0, v100, 0
	v_mov_b32_e32 v0, v3
	v_mad_u64_u32 v[8:9], s[0:1], s21, v180, v[0:1]
	v_add3_u32 v5, v5, v11, v10
	v_lshlrev_b64 v[4:5], 4, v[4:5]
	v_mov_b32_e32 v3, v8
	v_mov_b32_e32 v0, s9
	v_add_co_u32_e64 v8, s[0:1], s8, v4
	v_add_u32_e32 v9, 17, v180
	v_addc_co_u32_e64 v0, s[0:1], v0, v5, s[0:1]
	v_lshlrev_b64 v[4:5], 4, v[6:7]
	v_mad_u64_u32 v[6:7], s[0:1], s20, v9, 0
	v_add_co_u32_e64 v20, s[0:1], v8, v4
	v_addc_co_u32_e64 v21, s[0:1], v0, v5, s[0:1]
	v_mov_b32_e32 v0, v7
	v_mad_u64_u32 v[4:5], s[0:1], s21, v9, v[0:1]
	v_add_u32_e32 v5, 34, v180
	v_mad_u64_u32 v[8:9], s[0:1], s20, v5, 0
	v_lshlrev_b64 v[2:3], 4, v[2:3]
	v_mov_b32_e32 v7, v4
	v_add_co_u32_e64 v10, s[0:1], v20, v2
	v_mov_b32_e32 v0, v9
	v_addc_co_u32_e64 v11, s[0:1], v21, v3, s[0:1]
	v_lshlrev_b64 v[2:3], 4, v[6:7]
	v_mad_u64_u32 v[4:5], s[0:1], s21, v5, v[0:1]
	v_add_u32_e32 v7, 51, v180
	v_mad_u64_u32 v[5:6], s[0:1], s20, v7, 0
	v_add_co_u32_e64 v12, s[0:1], v20, v2
	v_mov_b32_e32 v0, v6
	v_addc_co_u32_e64 v13, s[0:1], v21, v3, s[0:1]
	v_mov_b32_e32 v9, v4
	v_mad_u64_u32 v[6:7], s[0:1], s21, v7, v[0:1]
	v_add_u32_e32 v4, 0x44, v180
	v_lshlrev_b64 v[2:3], 4, v[8:9]
	v_mad_u64_u32 v[7:8], s[0:1], s20, v4, 0
	v_add_co_u32_e64 v66, s[0:1], v20, v2
	v_mov_b32_e32 v0, v8
	v_addc_co_u32_e64 v67, s[0:1], v21, v3, s[0:1]
	v_lshlrev_b64 v[2:3], 4, v[5:6]
	v_mad_u64_u32 v[4:5], s[0:1], s21, v4, v[0:1]
	v_add_u32_e32 v9, 0x55, v180
	v_mad_u64_u32 v[5:6], s[0:1], s20, v9, 0
	v_add_co_u32_e64 v68, s[0:1], v20, v2
	v_mov_b32_e32 v8, v4
	v_mov_b32_e32 v0, v6
	v_addc_co_u32_e64 v69, s[0:1], v21, v3, s[0:1]
	v_lshlrev_b64 v[2:3], 4, v[7:8]
	v_mad_u64_u32 v[6:7], s[0:1], s21, v9, v[0:1]
	v_add_u32_e32 v4, 0x66, v180
	v_mad_u64_u32 v[7:8], s[0:1], s20, v4, 0
	v_add_co_u32_e64 v70, s[0:1], v20, v2
	v_mov_b32_e32 v0, v8
	v_addc_co_u32_e64 v71, s[0:1], v21, v3, s[0:1]
	v_lshlrev_b64 v[2:3], 4, v[5:6]
	v_mad_u64_u32 v[4:5], s[0:1], s21, v4, v[0:1]
	v_add_u32_e32 v9, 0x77, v180
	v_mad_u64_u32 v[5:6], s[0:1], s20, v9, 0
	v_add_co_u32_e64 v72, s[0:1], v20, v2
	v_mov_b32_e32 v8, v4
	v_mov_b32_e32 v0, v6
	v_addc_co_u32_e64 v73, s[0:1], v21, v3, s[0:1]
	v_lshlrev_b64 v[2:3], 4, v[7:8]
	v_mad_u64_u32 v[6:7], s[0:1], s21, v9, v[0:1]
	v_add_u32_e32 v4, 0x88, v180
	;; [unrolled: 15-line block ×5, first 2 shown]
	v_mad_u64_u32 v[7:8], s[0:1], s20, v4, 0
	v_add_co_u32_e64 v86, s[0:1], v20, v2
	v_mov_b32_e32 v0, v8
	v_addc_co_u32_e64 v87, s[0:1], v21, v3, s[0:1]
	v_lshlrev_b64 v[2:3], 4, v[5:6]
	v_mad_u64_u32 v[4:5], s[0:1], s21, v4, v[0:1]
	v_add_u32_e32 v5, 0xff, v180
	v_mad_u64_u32 v[18:19], s[0:1], s20, v5, 0
	v_add_co_u32_e64 v88, s[0:1], v20, v2
	v_mov_b32_e32 v8, v4
	v_mov_b32_e32 v0, v19
	v_addc_co_u32_e64 v89, s[0:1], v21, v3, s[0:1]
	v_lshlrev_b64 v[2:3], 4, v[7:8]
	v_mad_u64_u32 v[6:7], s[0:1], s21, v5, v[0:1]
	v_add_co_u32_e64 v90, s[0:1], v20, v2
	v_mov_b32_e32 v19, v6
	v_lshlrev_b64 v[6:7], 4, v[18:19]
	v_addc_co_u32_e64 v91, s[0:1], v21, v3, s[0:1]
	v_add_co_u32_e64 v92, s[0:1], v20, v6
	global_load_dwordx4 v[2:5], v[10:11], off
	global_load_dwordx4 v[14:17], v[12:13], off
	v_addc_co_u32_e64 v93, s[0:1], v21, v7, s[0:1]
	global_load_dwordx4 v[22:25], v[66:67], off
	global_load_dwordx4 v[6:9], v[68:69], off
	;; [unrolled: 1-line block ×14, first 2 shown]
.LBB0_12:
	s_or_b64 exec, exec, s[6:7]
	s_waitcnt vmcnt(5)
	v_add_f64 v[56:57], v[24:25], -v[56:57]
	v_add_f64 v[66:67], v[2:3], -v[42:43]
	s_waitcnt vmcnt(2)
	v_add_f64 v[34:35], v[18:19], -v[34:35]
	v_add_f64 v[36:37], v[20:21], -v[36:37]
	v_add_f64 v[26:27], v[6:7], -v[26:27]
	v_add_f64 v[28:29], v[8:9], -v[28:29]
	s_waitcnt vmcnt(0)
	v_add_f64 v[32:33], v[12:13], -v[32:33]
	v_add_f64 v[30:31], v[10:11], -v[30:31]
	v_fma_f64 v[42:43], v[24:25], 2.0, -v[56:57]
	v_add_f64 v[24:25], v[14:15], -v[50:51]
	v_add_f64 v[50:51], v[16:17], -v[52:53]
	;; [unrolled: 1-line block ×7, first 2 shown]
	v_fma_f64 v[18:19], v[18:19], 2.0, -v[34:35]
	v_fma_f64 v[14:15], v[14:15], 2.0, -v[24:25]
	;; [unrolled: 1-line block ×4, first 2 shown]
	v_add_f64 v[36:37], v[24:25], -v[36:37]
	v_add_f64 v[64:65], v[26:27], -v[32:33]
	v_fma_f64 v[10:11], v[10:11], 2.0, -v[30:31]
	v_add_f64 v[34:35], v[34:35], v[50:51]
	v_add_f64 v[30:31], v[28:29], v[30:31]
	v_fma_f64 v[2:3], v[2:3], 2.0, -v[66:67]
	v_fma_f64 v[38:39], v[38:39], 2.0, -v[58:59]
	;; [unrolled: 1-line block ×5, first 2 shown]
	v_add_f64 v[70:71], v[66:67], -v[54:55]
	v_add_f64 v[72:73], v[68:69], -v[60:61]
	v_fma_f64 v[24:25], v[24:25], 2.0, -v[36:37]
	v_fma_f64 v[26:27], v[26:27], 2.0, -v[64:65]
	v_add_f64 v[74:75], v[56:57], v[62:63]
	v_fma_f64 v[62:63], v[50:51], 2.0, -v[34:35]
	v_fma_f64 v[48:49], v[28:29], 2.0, -v[30:31]
	v_add_f64 v[18:19], v[14:15], -v[18:19]
	v_add_f64 v[10:11], v[6:7], -v[10:11]
	s_mov_b32 s0, 0x667f3bcd
	s_mov_b32 s1, 0x3fe6a09e
	;; [unrolled: 1-line block ×4, first 2 shown]
	v_fma_f64 v[16:17], v[16:17], 2.0, -v[50:51]
	v_add_f64 v[38:39], v[2:3], -v[38:39]
	v_fma_f64 v[66:67], v[66:67], 2.0, -v[70:71]
	v_fma_f64 v[76:77], v[68:69], 2.0, -v[72:73]
	v_add_f64 v[60:61], v[22:23], -v[46:47]
	v_fma_f64 v[46:47], v[26:27], s[18:19], v[24:25]
	v_fma_f64 v[50:51], v[48:49], s[18:19], v[62:63]
	v_fma_f64 v[14:15], v[14:15], 2.0, -v[18:19]
	v_fma_f64 v[68:69], v[6:7], 2.0, -v[10:11]
	v_fma_f64 v[80:81], v[64:65], s[0:1], v[36:37]
	v_fma_f64 v[28:29], v[8:9], 2.0, -v[28:29]
	v_fma_f64 v[8:9], v[12:13], 2.0, -v[32:33]
	;; [unrolled: 1-line block ×3, first 2 shown]
	v_fma_f64 v[56:57], v[76:77], s[18:19], v[66:67]
	v_fma_f64 v[2:3], v[2:3], 2.0, -v[38:39]
	v_fma_f64 v[22:23], v[22:23], 2.0, -v[60:61]
	v_fma_f64 v[6:7], v[48:49], s[18:19], v[46:47]
	v_fma_f64 v[48:49], v[26:27], s[0:1], v[50:51]
	v_add_f64 v[46:47], v[14:15], -v[68:69]
	v_fma_f64 v[50:51], v[30:31], s[18:19], v[80:81]
	v_fma_f64 v[12:13], v[30:31], s[0:1], v[34:35]
	v_add_f64 v[68:69], v[42:43], -v[52:53]
	v_add_f64 v[30:31], v[28:29], -v[8:9]
	v_fma_f64 v[8:9], v[72:73], s[0:1], v[70:71]
	v_fma_f64 v[32:33], v[78:79], s[18:19], v[56:57]
	v_add_f64 v[22:23], v[2:3], -v[22:23]
	v_add_f64 v[20:21], v[16:17], -v[20:21]
	v_fma_f64 v[52:53], v[24:25], 2.0, -v[6:7]
	v_fma_f64 v[14:15], v[14:15], 2.0, -v[46:47]
	v_add_f64 v[82:83], v[38:39], -v[68:69]
	v_add_f64 v[90:91], v[18:19], -v[30:31]
	v_fma_f64 v[84:85], v[74:75], s[18:19], v[8:9]
	v_fma_f64 v[26:27], v[66:67], 2.0, -v[32:33]
	v_fma_f64 v[2:3], v[2:3], 2.0, -v[22:23]
	;; [unrolled: 1-line block ×3, first 2 shown]
	v_fma_f64 v[64:65], v[64:65], s[0:1], v[12:13]
	v_fma_f64 v[62:63], v[36:37], 2.0, -v[50:51]
	v_fma_f64 v[24:25], v[38:39], 2.0, -v[82:83]
	v_add_f64 v[38:39], v[10:11], v[20:21]
	v_fma_f64 v[92:93], v[18:19], 2.0, -v[90:91]
	v_fma_f64 v[86:87], v[70:71], 2.0, -v[84:85]
	;; [unrolled: 1-line block ×4, first 2 shown]
	s_mov_b32 s6, 0xcf328d46
	s_mov_b32 s8, 0xa6aea964
	;; [unrolled: 1-line block ×5, first 2 shown]
	v_mul_hi_u32 v0, v1, s14
	s_mov_b32 s15, 0x3fed906b
	s_mov_b32 s14, s6
	;; [unrolled: 1-line block ×4, first 2 shown]
	v_fma_f64 v[12:13], v[52:53], s[6:7], v[26:27]
	v_add_f64 v[8:9], v[2:3], -v[14:15]
	v_fma_f64 v[66:67], v[34:35], 2.0, -v[64:65]
	v_fma_f64 v[36:37], v[20:21], 2.0, -v[38:39]
	v_fma_f64 v[14:15], v[92:93], s[18:19], v[24:25]
	v_fma_f64 v[18:19], v[62:63], s[8:9], v[86:87]
	v_add_f64 v[80:81], v[70:71], -v[10:11]
	v_fma_f64 v[20:21], v[6:7], s[16:17], v[32:33]
	v_fma_f64 v[28:29], v[90:91], s[0:1], v[82:83]
	;; [unrolled: 1-line block ×3, first 2 shown]
	v_sub_u32_e32 v16, v1, v0
	v_lshrrev_b32_e32 v16, 1, v16
	v_add_u32_e32 v0, v16, v0
	v_fma_f64 v[10:11], v[56:57], s[8:9], v[12:13]
	v_fma_f64 v[12:13], v[36:37], s[18:19], v[14:15]
	;; [unrolled: 1-line block ×3, first 2 shown]
	v_add_f64 v[16:17], v[22:23], -v[80:81]
	v_fma_f64 v[18:19], v[48:49], s[6:7], v[20:21]
	v_fma_f64 v[28:29], v[38:39], s[18:19], v[28:29]
	;; [unrolled: 1-line block ×3, first 2 shown]
	v_lshrrev_b32_e32 v0, 2, v0
	v_mul_lo_u32 v0, v0, 7
	v_fma_f64 v[24:25], v[24:25], 2.0, -v[12:13]
	s_load_dwordx2 s[4:5], s[4:5], 0x0
	v_fma_f64 v[20:21], v[22:23], 2.0, -v[16:17]
	v_sub_u32_e32 v88, v1, v0
	v_fma_f64 v[0:1], v[2:3], 2.0, -v[8:9]
	v_fma_f64 v[2:3], v[26:27], 2.0, -v[10:11]
	v_fma_f64 v[26:27], v[86:87], 2.0, -v[14:15]
	v_fma_f64 v[22:23], v[32:33], 2.0, -v[18:19]
	v_fma_f64 v[32:33], v[82:83], 2.0, -v[28:29]
	v_fma_f64 v[34:35], v[84:85], 2.0, -v[30:31]
	v_mul_u32_u24_e32 v94, 0x110, v88
	v_mul_f64 v[82:83], v[76:77], s[0:1]
	v_mul_f64 v[86:87], v[78:79], s[0:1]
	;; [unrolled: 1-line block ×8, first 2 shown]
	v_lshl_add_u32 v36, v180, 7, 0
	v_lshl_add_u32 v90, v94, 3, v36
	v_cmp_gt_u32_e64 s[0:1], 16, v180
	v_lshlrev_b32_e32 v91, 3, v94
	v_lshlrev_b32_e32 v92, 3, v180
	ds_write_b128 v90, v[0:3]
	ds_write_b128 v90, v[24:27] offset:16
	ds_write_b128 v90, v[20:23] offset:32
	;; [unrolled: 1-line block ×7, first 2 shown]
	s_waitcnt lgkmcnt(0)
	s_barrier
	s_waitcnt lgkmcnt(0)
                                        ; implicit-def: $vgpr38_vgpr39
	s_and_saveexec_b64 s[18:19], s[0:1]
	s_cbranch_execz .LBB0_14
; %bb.13:
	v_mul_i32_i24_e32 v2, 0xffffff88, v180
	v_add3_u32 v0, 0, v91, v92
	v_add3_u32 v2, v36, v2, v91
	ds_read_b64 v[0:1], v0
	ds_read2_b64 v[8:11], v2 offset0:16 offset1:32
	ds_read2_b64 v[12:15], v2 offset0:48 offset1:64
	;; [unrolled: 1-line block ×7, first 2 shown]
	v_add_u32_e32 v2, 0x400, v2
	ds_read2_b64 v[36:39], v2 offset0:112 offset1:128
	s_waitcnt lgkmcnt(7)
	v_mov_b32_e32 v2, v8
	v_mov_b32_e32 v3, v9
	;; [unrolled: 1-line block ×3, first 2 shown]
	s_waitcnt lgkmcnt(6)
	v_mov_b32_e32 v27, v13
	v_mov_b32_e32 v21, v15
	s_waitcnt lgkmcnt(5)
	v_mov_b32_e32 v22, v30
	s_waitcnt lgkmcnt(4)
	v_mov_b32_e32 v35, v17
	v_mov_b32_e32 v8, v18
	v_mov_b32_e32 v24, v10
	v_mov_b32_e32 v26, v12
	v_mov_b32_e32 v20, v14
	v_mov_b32_e32 v23, v31
	v_mov_b32_e32 v34, v16
	v_mov_b32_e32 v9, v19
	s_waitcnt lgkmcnt(3)
	v_mov_b32_e32 v12, v95
	s_waitcnt lgkmcnt(2)
	v_mov_b32_e32 v14, v102
	v_mov_b32_e32 v16, v104
	s_waitcnt lgkmcnt(1)
	v_mov_b32_e32 v18, v106
	;; [unrolled: 3-line block ×3, first 2 shown]
	v_mov_b32_e32 v10, v93
	v_mov_b32_e32 v13, v96
	;; [unrolled: 1-line block ×8, first 2 shown]
.LBB0_14:
	s_or_b64 exec, exec, s[18:19]
	v_add_f64 v[36:37], v[4:5], -v[44:45]
	v_fma_f64 v[40:41], v[40:41], 2.0, -v[54:55]
	v_fma_f64 v[42:43], v[42:43], 2.0, -v[68:69]
	s_barrier
	v_add_f64 v[44:45], v[58:59], v[36:37]
	v_fma_f64 v[4:5], v[4:5], 2.0, -v[36:37]
	v_fma_f64 v[36:37], v[36:37], 2.0, -v[44:45]
	v_add_f64 v[40:41], v[4:5], -v[40:41]
	v_add_f64 v[54:55], v[44:45], v[88:89]
	v_add_f64 v[58:59], v[36:37], -v[86:87]
	v_add_f64 v[86:87], v[60:61], v[40:41]
	v_add_f64 v[54:55], v[84:85], v[54:55]
	v_fma_f64 v[4:5], v[4:5], 2.0, -v[40:41]
	v_add_f64 v[68:69], v[82:83], v[58:59]
	v_fma_f64 v[58:59], v[70:71], 2.0, -v[80:81]
	v_fma_f64 v[70:71], v[40:41], 2.0, -v[86:87]
	;; [unrolled: 1-line block ×3, first 2 shown]
	v_add_f64 v[82:83], v[4:5], -v[42:43]
	v_add_f64 v[40:41], v[78:79], v[86:87]
	v_fma_f64 v[42:43], v[64:65], s[14:15], v[54:55]
	v_fma_f64 v[36:37], v[36:37], 2.0, -v[68:69]
	v_add_f64 v[60:61], v[70:71], -v[76:77]
	v_fma_f64 v[64:65], v[66:67], s[8:9], v[80:81]
	v_fma_f64 v[66:67], v[48:49], s[16:17], v[68:69]
	v_fma_f64 v[4:5], v[4:5], 2.0, -v[82:83]
	v_add_f64 v[40:41], v[74:75], v[40:41]
	v_fma_f64 v[42:43], v[50:51], s[16:17], v[42:43]
	v_fma_f64 v[56:57], v[56:57], s[6:7], v[36:37]
	v_add_f64 v[44:45], v[46:47], v[82:83]
	v_add_f64 v[48:49], v[72:73], v[60:61]
	v_fma_f64 v[50:51], v[62:63], s[14:15], v[64:65]
	v_fma_f64 v[46:47], v[6:7], s[14:15], v[66:67]
	v_add_f64 v[60:61], v[4:5], -v[58:59]
                                        ; implicit-def: $vgpr72_vgpr73
	v_fma_f64 v[58:59], v[54:55], 2.0, -v[42:43]
	v_fma_f64 v[62:63], v[52:53], s[16:17], v[56:57]
	v_fma_f64 v[56:57], v[86:87], 2.0, -v[40:41]
	v_fma_f64 v[64:65], v[82:83], 2.0, -v[44:45]
	;; [unrolled: 1-line block ×7, first 2 shown]
	ds_write_b128 v90, v[40:43] offset:112
	ds_write_b128 v90, v[56:59] offset:48
	;; [unrolled: 1-line block ×7, first 2 shown]
	ds_write_b128 v90, v[4:7]
	s_waitcnt lgkmcnt(0)
	s_barrier
	s_and_saveexec_b64 s[6:7], s[0:1]
	s_cbranch_execz .LBB0_16
; %bb.15:
	v_add3_u32 v4, 0, v91, v92
	v_add3_u32 v6, 0, v92, v91
	ds_read_b64 v[4:5], v4
	ds_read2_b64 v[74:77], v6 offset0:16 offset1:32
	ds_read2_b64 v[52:55], v6 offset0:48 offset1:64
	;; [unrolled: 1-line block ×7, first 2 shown]
	v_add_u32_e32 v6, 0x400, v6
	ds_read2_b64 v[70:73], v6 offset0:112 offset1:128
	s_waitcnt lgkmcnt(5)
	v_mov_b32_e32 v56, v66
	v_mov_b32_e32 v57, v67
	;; [unrolled: 1-line block ×3, first 2 shown]
	s_waitcnt lgkmcnt(2)
	v_mov_b32_e32 v51, v45
	v_mov_b32_e32 v66, v64
	;; [unrolled: 1-line block ×13, first 2 shown]
	s_waitcnt lgkmcnt(1)
	v_mov_b32_e32 v46, v82
	v_mov_b32_e32 v40, v84
	s_waitcnt lgkmcnt(0)
	v_mov_b32_e32 v42, v70
	v_mov_b32_e32 v62, v78
	;; [unrolled: 1-line block ×12, first 2 shown]
.LBB0_16:
	s_or_b64 exec, exec, s[6:7]
	v_cmp_gt_u32_e64 s[0:1], 16, v180
	s_and_b64 s[0:1], vcc, s[0:1]
	s_and_saveexec_b64 s[6:7], s[0:1]
	s_cbranch_execz .LBB0_18
; %bb.17:
	v_lshlrev_b32_e32 v36, 4, v180
	v_and_b32_e32 v36, 0xf0, v36
	v_lshlrev_b32_e32 v36, 4, v36
	global_load_dwordx4 v[78:81], v36, s[12:13] offset:112
	global_load_dwordx4 v[68:71], v36, s[12:13] offset:128
	;; [unrolled: 1-line block ×10, first 2 shown]
	global_load_dwordx4 v[118:121], v36, s[12:13]
	global_load_dwordx4 v[122:125], v36, s[12:13] offset:32
	global_load_dwordx4 v[126:129], v36, s[12:13] offset:208
	;; [unrolled: 1-line block ×5, first 2 shown]
	s_mov_b32 s0, 0x7faef3
	s_mov_b32 s1, 0xbfef7484
	;; [unrolled: 1-line block ×48, first 2 shown]
	s_waitcnt vmcnt(15)
	v_mul_f64 v[36:37], v[60:61], v[78:79]
	v_mul_f64 v[60:61], v[60:61], v[80:81]
	s_waitcnt vmcnt(14)
	v_mul_f64 v[156:157], v[62:63], v[68:69]
	s_waitcnt vmcnt(12)
	v_mul_f64 v[130:131], v[56:57], v[90:91]
	v_mul_f64 v[56:57], v[56:57], v[92:93]
	s_waitcnt vmcnt(10)
	v_mul_f64 v[160:161], v[50:51], v[74:75]
	v_mul_f64 v[181:182], v[50:51], v[76:77]
	s_waitcnt vmcnt(9)
	v_mul_f64 v[50:51], v[66:67], v[82:83]
	v_mul_f64 v[162:163], v[66:67], v[84:85]
	s_waitcnt vmcnt(8)
	v_mul_f64 v[66:67], v[64:65], v[106:107]
	s_waitcnt vmcnt(5)
	v_mul_f64 v[166:167], v[6:7], v[118:119]
	v_mul_f64 v[6:7], v[6:7], v[120:121]
	;; [unrolled: 1-line block ×4, first 2 shown]
	s_waitcnt vmcnt(4)
	v_mul_f64 v[168:169], v[54:55], v[122:123]
	s_waitcnt vmcnt(0)
	v_mul_f64 v[178:179], v[72:73], v[146:147]
	v_mul_f64 v[172:173], v[54:55], v[124:125]
	;; [unrolled: 1-line block ×6, first 2 shown]
	v_fma_f64 v[136:137], v[22:23], v[84:85], v[50:51]
	v_fma_f64 v[50:51], v[2:3], v[120:121], v[166:167]
	v_fma_f64 v[174:175], v[2:3], v[118:119], -v[6:7]
	v_fma_f64 v[2:3], v[38:39], v[148:149], v[178:179]
	v_mul_f64 v[158:159], v[62:63], v[70:71]
	v_mul_f64 v[62:63], v[58:59], v[94:95]
	;; [unrolled: 1-line block ×5, first 2 shown]
	v_fma_f64 v[132:133], v[32:33], v[90:91], -v[56:57]
	v_fma_f64 v[140:141], v[20:21], v[106:107], -v[64:65]
	v_fma_f64 v[64:65], v[18:19], v[116:117], v[164:165]
	v_fma_f64 v[164:165], v[24:25], v[144:145], v[54:55]
	;; [unrolled: 1-line block ×3, first 2 shown]
	v_fma_f64 v[54:55], v[38:39], v[146:147], -v[72:73]
	v_add_f64 v[52:53], v[50:51], v[2:3]
	v_mul_f64 v[134:135], v[48:49], v[86:87]
	v_mul_f64 v[48:49], v[48:49], v[88:89]
	v_mul_f64 v[154:155], v[44:45], v[110:111]
	v_mul_f64 v[46:47], v[46:47], v[116:117]
	v_mul_f64 v[40:41], v[40:41], v[128:129]
	v_fma_f64 v[104:105], v[8:9], v[78:79], -v[60:61]
	v_fma_f64 v[94:95], v[34:35], v[94:95], -v[58:59]
	v_fma_f64 v[148:149], v[26:27], v[124:125], v[168:169]
	v_fma_f64 v[60:61], v[28:29], v[128:129], v[170:171]
	v_fma_f64 v[166:167], v[24:25], v[142:143], -v[176:177]
	v_fma_f64 v[58:59], v[30:31], v[150:151], -v[42:43]
	v_add_f64 v[178:179], v[164:165], v[56:57]
	v_add_f64 v[150:151], v[174:175], -v[54:55]
	v_mul_f64 v[6:7], v[52:53], s[0:1]
	v_fma_f64 v[102:103], v[8:9], v[80:81], v[36:37]
	v_fma_f64 v[96:97], v[34:35], v[96:97], v[62:63]
	;; [unrolled: 1-line block ×3, first 2 shown]
	v_fma_f64 v[78:79], v[12:13], v[86:87], -v[48:49]
	v_fma_f64 v[138:139], v[20:21], v[108:109], v[66:67]
	v_fma_f64 v[66:67], v[16:17], v[112:113], v[154:155]
	v_fma_f64 v[154:155], v[26:27], v[122:123], -v[172:173]
	v_fma_f64 v[62:63], v[28:29], v[126:127], -v[40:41]
	v_fma_f64 v[72:73], v[18:19], v[114:115], -v[46:47]
	v_add_f64 v[168:169], v[50:51], -v[2:3]
	v_add_f64 v[176:177], v[148:149], v[60:61]
	v_add_f64 v[120:121], v[166:167], -v[58:59]
	v_mul_f64 v[12:13], v[178:179], s[24:25]
	v_fma_f64 v[18:19], v[150:151], s[12:13], v[6:7]
	v_add_f64 v[134:135], v[164:165], -v[56:57]
	v_add_f64 v[146:147], v[174:175], v[54:55]
	v_add_f64 v[88:89], v[154:155], -v[62:63]
	v_mul_f64 v[8:9], v[168:169], s[8:9]
	v_add_f64 v[170:171], v[138:139], v[64:65]
	v_mul_f64 v[24:25], v[176:177], s[6:7]
	v_fma_f64 v[28:29], v[120:121], s[26:27], v[12:13]
	v_add_f64 v[18:19], v[4:5], v[18:19]
	v_mul_f64 v[44:45], v[44:45], v[112:113]
	v_fma_f64 v[130:131], v[32:33], v[92:93], v[130:131]
	v_add_f64 v[86:87], v[166:167], v[58:59]
	v_add_f64 v[126:127], v[148:149], -v[60:61]
	v_mul_f64 v[20:21], v[134:135], s[28:29]
	v_fma_f64 v[26:27], v[146:147], s[0:1], v[8:9]
	v_add_f64 v[92:93], v[140:141], -v[72:73]
	v_mul_f64 v[32:33], v[170:171], s[18:19]
	v_fma_f64 v[36:37], v[88:89], s[20:21], v[24:25]
	v_add_f64 v[18:19], v[28:29], v[18:19]
	v_add_f64 v[90:91], v[154:155], v[62:63]
	v_mul_f64 v[30:31], v[126:127], s[14:15]
	v_fma_f64 v[34:35], v[86:87], s[24:25], v[20:21]
	v_add_f64 v[26:27], v[0:1], v[26:27]
	v_fma_f64 v[84:85], v[14:15], v[76:77], v[160:161]
	v_fma_f64 v[162:163], v[22:23], v[82:83], -v[162:163]
	v_fma_f64 v[76:77], v[16:17], v[110:111], -v[44:45]
	v_add_f64 v[172:173], v[136:137], v[66:67]
	v_fma_f64 v[22:23], v[92:93], s[22:23], v[32:33]
	v_add_f64 v[18:19], v[36:37], v[18:19]
	v_add_f64 v[128:129], v[138:139], -v[64:65]
	v_fma_f64 v[16:17], v[90:91], s[6:7], v[30:31]
	v_add_f64 v[26:27], v[34:35], v[26:27]
	v_fma_f64 v[74:75], v[14:15], v[74:75], -v[181:182]
	v_add_f64 v[106:107], v[162:163], -v[76:77]
	v_mul_f64 v[14:15], v[172:173], s[16:17]
	v_add_f64 v[160:161], v[130:131], v[84:85]
	v_add_f64 v[112:113], v[140:141], v[72:73]
	;; [unrolled: 1-line block ×3, first 2 shown]
	v_mul_f64 v[22:23], v[128:129], s[42:43]
	v_add_f64 v[124:125], v[136:137], -v[66:67]
	v_add_f64 v[16:17], v[16:17], v[26:27]
	v_add_f64 v[82:83], v[132:133], -v[74:75]
	v_fma_f64 v[26:27], v[106:107], s[44:45], v[14:15]
	v_mul_f64 v[28:29], v[160:161], s[36:37]
	v_add_f64 v[110:111], v[162:163], v[76:77]
	v_add_f64 v[118:119], v[130:131], -v[84:85]
	v_fma_f64 v[34:35], v[112:113], s[18:19], v[22:23]
	v_mul_f64 v[36:37], v[124:125], s[30:31]
	v_add_f64 v[152:153], v[96:97], v[80:81]
	v_fma_f64 v[6:7], v[150:151], s[8:9], v[6:7]
	v_fma_f64 v[156:157], v[10:11], v[70:71], v[156:157]
	v_add_f64 v[18:19], v[26:27], v[18:19]
	v_fma_f64 v[26:27], v[82:83], s[38:39], v[28:29]
	v_add_f64 v[108:109], v[132:133], v[74:75]
	v_add_f64 v[16:17], v[34:35], v[16:17]
	v_fma_f64 v[34:35], v[110:111], s[16:17], v[36:37]
	v_mul_f64 v[38:39], v[118:119], s[52:53]
	v_mul_f64 v[40:41], v[152:153], s[34:35]
	v_add_f64 v[122:123], v[96:97], -v[80:81]
	v_add_f64 v[114:115], v[94:95], -v[78:79]
	v_fma_f64 v[158:159], v[10:11], v[68:69], -v[158:159]
	v_fma_f64 v[12:13], v[120:121], s[28:29], v[12:13]
	v_add_f64 v[6:7], v[4:5], v[6:7]
	v_add_f64 v[70:71], v[102:103], v[156:157]
	v_fma_f64 v[8:9], v[146:147], s[0:1], -v[8:9]
	v_add_f64 v[16:17], v[34:35], v[16:17]
	v_fma_f64 v[34:35], v[108:109], s[36:37], v[38:39]
	v_add_f64 v[116:117], v[94:95], v[78:79]
	v_mul_f64 v[42:43], v[122:123], s[40:41]
	v_add_f64 v[10:11], v[26:27], v[18:19]
	v_fma_f64 v[18:19], v[114:115], s[50:51], v[40:41]
	v_add_f64 v[6:7], v[12:13], v[6:7]
	v_fma_f64 v[12:13], v[88:89], s[14:15], v[24:25]
	v_mul_f64 v[24:25], v[70:71], s[46:47]
	v_add_f64 v[144:145], v[102:103], -v[156:157]
	v_fma_f64 v[20:21], v[86:87], s[24:25], -v[20:21]
	v_add_f64 v[8:9], v[0:1], v[8:9]
	v_add_f64 v[68:69], v[104:105], -v[158:159]
	v_add_f64 v[16:17], v[34:35], v[16:17]
	v_fma_f64 v[26:27], v[116:117], s[34:35], v[42:43]
	v_add_f64 v[6:7], v[12:13], v[6:7]
	v_fma_f64 v[12:13], v[92:93], s[42:43], v[32:33]
	v_add_f64 v[142:143], v[104:105], v[158:159]
	v_mul_f64 v[32:33], v[144:145], s[54:55]
	v_add_f64 v[8:9], v[20:21], v[8:9]
	v_fma_f64 v[20:21], v[90:91], s[6:7], -v[30:31]
	v_add_f64 v[10:11], v[18:19], v[10:11]
	v_fma_f64 v[18:19], v[68:69], s[48:49], v[24:25]
	v_mul_f64 v[30:31], v[52:53], s[6:7]
	v_add_f64 v[6:7], v[12:13], v[6:7]
	v_fma_f64 v[12:13], v[106:107], s[30:31], v[14:15]
	v_add_f64 v[14:15], v[26:27], v[16:17]
	v_fma_f64 v[16:17], v[142:143], s[46:47], v[32:33]
	v_add_f64 v[20:21], v[20:21], v[8:9]
	v_fma_f64 v[22:23], v[112:113], s[18:19], -v[22:23]
	v_add_f64 v[8:9], v[18:19], v[10:11]
	v_fma_f64 v[10:11], v[150:151], s[20:21], v[30:31]
	v_mul_f64 v[18:19], v[178:179], s[36:37]
	v_add_f64 v[12:13], v[12:13], v[6:7]
	v_fma_f64 v[26:27], v[82:83], s[52:53], v[28:29]
	v_mul_f64 v[28:29], v[168:169], s[14:15]
	v_add_f64 v[6:7], v[16:17], v[14:15]
	v_add_f64 v[14:15], v[22:23], v[20:21]
	v_fma_f64 v[16:17], v[110:111], s[16:17], -v[36:37]
	v_add_f64 v[10:11], v[4:5], v[10:11]
	v_fma_f64 v[20:21], v[120:121], s[38:39], v[18:19]
	v_mul_f64 v[22:23], v[176:177], s[46:47]
	v_add_f64 v[12:13], v[26:27], v[12:13]
	v_fma_f64 v[26:27], v[146:147], s[6:7], v[28:29]
	v_mul_f64 v[34:35], v[134:135], s[52:53]
	v_fma_f64 v[36:37], v[114:115], s[40:41], v[40:41]
	v_add_f64 v[14:15], v[16:17], v[14:15]
	v_fma_f64 v[16:17], v[108:109], s[36:37], -v[38:39]
	v_add_f64 v[10:11], v[20:21], v[10:11]
	v_fma_f64 v[20:21], v[88:89], s[54:55], v[22:23]
	v_mul_f64 v[38:39], v[170:171], s[16:17]
	v_add_f64 v[26:27], v[0:1], v[26:27]
	v_fma_f64 v[40:41], v[86:87], s[36:37], v[34:35]
	v_mul_f64 v[44:45], v[126:127], s[48:49]
	v_add_f64 v[12:13], v[36:37], v[12:13]
	v_add_f64 v[14:15], v[16:17], v[14:15]
	v_fma_f64 v[16:17], v[116:117], s[34:35], -v[42:43]
	v_add_f64 v[10:11], v[20:21], v[10:11]
	v_fma_f64 v[20:21], v[92:93], s[30:31], v[38:39]
	v_mul_f64 v[36:37], v[172:173], s[24:25]
	v_add_f64 v[26:27], v[40:41], v[26:27]
	v_fma_f64 v[40:41], v[90:91], s[46:47], v[44:45]
	v_mul_f64 v[42:43], v[128:129], s[44:45]
	v_fma_f64 v[24:25], v[68:69], s[54:55], v[24:25]
	v_add_f64 v[14:15], v[16:17], v[14:15]
	v_fma_f64 v[16:17], v[142:143], s[46:47], -v[32:33]
	v_add_f64 v[20:21], v[20:21], v[10:11]
	v_fma_f64 v[10:11], v[150:151], s[14:15], v[30:31]
	v_fma_f64 v[30:31], v[106:107], s[28:29], v[36:37]
	v_add_f64 v[26:27], v[40:41], v[26:27]
	v_fma_f64 v[32:33], v[112:113], s[16:17], v[42:43]
	v_add_f64 v[12:13], v[24:25], v[12:13]
	v_mul_f64 v[24:25], v[124:125], s[26:27]
	v_mul_f64 v[40:41], v[160:161], s[0:1]
	v_fma_f64 v[18:19], v[120:121], s[52:53], v[18:19]
	v_add_f64 v[46:47], v[4:5], v[10:11]
	v_add_f64 v[10:11], v[16:17], v[14:15]
	;; [unrolled: 1-line block ×3, first 2 shown]
	v_fma_f64 v[20:21], v[146:147], s[6:7], -v[28:29]
	v_add_f64 v[16:17], v[32:33], v[26:27]
	v_fma_f64 v[26:27], v[110:111], s[24:25], v[24:25]
	v_mul_f64 v[28:29], v[118:119], s[8:9]
	v_fma_f64 v[30:31], v[82:83], s[12:13], v[40:41]
	v_add_f64 v[18:19], v[18:19], v[46:47]
	v_fma_f64 v[22:23], v[88:89], s[48:49], v[22:23]
	v_mul_f64 v[32:33], v[152:153], s[18:19]
	v_fma_f64 v[34:35], v[86:87], s[36:37], -v[34:35]
	v_add_f64 v[20:21], v[0:1], v[20:21]
	v_add_f64 v[16:17], v[26:27], v[16:17]
	v_fma_f64 v[26:27], v[108:109], s[0:1], v[28:29]
	v_mul_f64 v[46:47], v[122:123], s[42:43]
	v_add_f64 v[14:15], v[30:31], v[14:15]
	v_add_f64 v[18:19], v[22:23], v[18:19]
	v_fma_f64 v[22:23], v[92:93], s[44:45], v[38:39]
	v_fma_f64 v[30:31], v[114:115], s[22:23], v[32:33]
	v_add_f64 v[20:21], v[34:35], v[20:21]
	v_fma_f64 v[34:35], v[90:91], s[46:47], -v[44:45]
	v_add_f64 v[16:17], v[26:27], v[16:17]
	v_fma_f64 v[26:27], v[116:117], s[18:19], v[46:47]
	v_mul_f64 v[38:39], v[70:71], s[34:35]
	v_mul_f64 v[44:45], v[144:145], s[40:41]
	v_add_f64 v[18:19], v[22:23], v[18:19]
	v_fma_f64 v[22:23], v[106:107], s[26:27], v[36:37]
	v_add_f64 v[14:15], v[30:31], v[14:15]
	v_add_f64 v[20:21], v[34:35], v[20:21]
	v_fma_f64 v[30:31], v[112:113], s[16:17], -v[42:43]
	v_mul_f64 v[34:35], v[52:53], s[16:17]
	v_add_f64 v[26:27], v[26:27], v[16:17]
	v_fma_f64 v[16:17], v[68:69], s[50:51], v[38:39]
	v_fma_f64 v[36:37], v[142:143], s[34:35], v[44:45]
	v_add_f64 v[18:19], v[22:23], v[18:19]
	v_mul_f64 v[22:23], v[168:169], s[30:31]
	v_fma_f64 v[40:41], v[82:83], s[8:9], v[40:41]
	v_add_f64 v[20:21], v[30:31], v[20:21]
	v_fma_f64 v[24:25], v[110:111], s[24:25], -v[24:25]
	v_fma_f64 v[30:31], v[150:151], s[44:45], v[34:35]
	v_mul_f64 v[42:43], v[178:179], s[34:35]
	v_add_f64 v[16:17], v[16:17], v[14:15]
	v_add_f64 v[14:15], v[36:37], v[26:27]
	v_fma_f64 v[26:27], v[146:147], s[16:17], v[22:23]
	v_mul_f64 v[36:37], v[134:135], s[50:51]
	v_add_f64 v[18:19], v[40:41], v[18:19]
	v_add_f64 v[20:21], v[24:25], v[20:21]
	v_fma_f64 v[24:25], v[108:109], s[0:1], -v[28:29]
	v_add_f64 v[28:29], v[4:5], v[30:31]
	v_fma_f64 v[30:31], v[120:121], s[40:41], v[42:43]
	v_mul_f64 v[40:41], v[176:177], s[24:25]
	v_add_f64 v[26:27], v[0:1], v[26:27]
	v_fma_f64 v[48:49], v[86:87], s[34:35], v[36:37]
	v_mul_f64 v[181:182], v[126:127], s[26:27]
	v_fma_f64 v[32:33], v[114:115], s[42:43], v[32:33]
	v_add_f64 v[20:21], v[24:25], v[20:21]
	v_fma_f64 v[24:25], v[116:117], s[18:19], -v[46:47]
	v_add_f64 v[28:29], v[30:31], v[28:29]
	v_fma_f64 v[30:31], v[88:89], s[28:29], v[40:41]
	v_mul_f64 v[46:47], v[170:171], s[6:7]
	v_add_f64 v[26:27], v[48:49], v[26:27]
	v_fma_f64 v[48:49], v[90:91], s[24:25], v[181:182]
	v_mul_f64 v[183:184], v[128:129], s[14:15]
	v_add_f64 v[18:19], v[32:33], v[18:19]
	v_add_f64 v[24:25], v[24:25], v[20:21]
	v_fma_f64 v[20:21], v[68:69], s[40:41], v[38:39]
	v_add_f64 v[28:29], v[30:31], v[28:29]
	v_fma_f64 v[30:31], v[92:93], s[20:21], v[46:47]
	v_mul_f64 v[32:33], v[172:173], s[46:47]
	v_add_f64 v[26:27], v[48:49], v[26:27]
	v_fma_f64 v[38:39], v[112:113], s[6:7], v[183:184]
	v_mul_f64 v[48:49], v[124:125], s[54:55]
	v_fma_f64 v[44:45], v[142:143], s[34:35], -v[44:45]
	v_add_f64 v[20:21], v[20:21], v[18:19]
	v_fma_f64 v[18:19], v[150:151], s[30:31], v[34:35]
	v_add_f64 v[28:29], v[30:31], v[28:29]
	v_fma_f64 v[30:31], v[106:107], s[48:49], v[32:33]
	v_mul_f64 v[34:35], v[160:161], s[18:19]
	v_add_f64 v[26:27], v[38:39], v[26:27]
	v_fma_f64 v[38:39], v[110:111], s[46:47], v[48:49]
	v_mul_f64 v[185:186], v[118:119], s[22:23]
	v_fma_f64 v[42:43], v[120:121], s[50:51], v[42:43]
	v_add_f64 v[187:188], v[4:5], v[18:19]
	v_add_f64 v[18:19], v[44:45], v[24:25]
	;; [unrolled: 1-line block ×3, first 2 shown]
	v_fma_f64 v[28:29], v[82:83], s[42:43], v[34:35]
	v_fma_f64 v[22:23], v[146:147], s[16:17], -v[22:23]
	v_mul_f64 v[30:31], v[152:153], s[0:1]
	v_add_f64 v[26:27], v[38:39], v[26:27]
	v_fma_f64 v[38:39], v[108:109], s[18:19], v[185:186]
	v_add_f64 v[42:43], v[42:43], v[187:188]
	v_fma_f64 v[40:41], v[88:89], s[26:27], v[40:41]
	v_fma_f64 v[36:37], v[86:87], s[34:35], -v[36:37]
	v_add_f64 v[24:25], v[28:29], v[24:25]
	v_add_f64 v[22:23], v[0:1], v[22:23]
	v_fma_f64 v[28:29], v[114:115], s[12:13], v[30:31]
	v_mul_f64 v[187:188], v[70:71], s[36:37]
	v_mul_f64 v[44:45], v[122:123], s[8:9]
	v_add_f64 v[26:27], v[38:39], v[26:27]
	v_add_f64 v[38:39], v[40:41], v[42:43]
	v_fma_f64 v[40:41], v[92:93], s[14:15], v[46:47]
	v_mul_f64 v[46:47], v[52:53], s[34:35]
	v_add_f64 v[22:23], v[36:37], v[22:23]
	v_fma_f64 v[36:37], v[90:91], s[24:25], -v[181:182]
	v_add_f64 v[24:25], v[28:29], v[24:25]
	v_fma_f64 v[28:29], v[68:69], s[38:39], v[187:188]
	v_fma_f64 v[42:43], v[116:117], s[0:1], v[44:45]
	v_mul_f64 v[181:182], v[144:145], s[52:53]
	v_add_f64 v[38:39], v[40:41], v[38:39]
	v_fma_f64 v[32:33], v[106:107], s[54:55], v[32:33]
	v_mul_f64 v[40:41], v[178:179], s[6:7]
	v_add_f64 v[22:23], v[36:37], v[22:23]
	v_fma_f64 v[36:37], v[112:113], s[6:7], -v[183:184]
	v_add_f64 v[24:25], v[28:29], v[24:25]
	v_fma_f64 v[28:29], v[150:151], s[50:51], v[46:47]
	v_add_f64 v[26:27], v[42:43], v[26:27]
	v_fma_f64 v[42:43], v[142:143], s[36:37], v[181:182]
	v_add_f64 v[32:33], v[32:33], v[38:39]
	v_mul_f64 v[38:39], v[168:169], s[40:41]
	v_fma_f64 v[34:35], v[82:83], s[22:23], v[34:35]
	v_add_f64 v[36:37], v[36:37], v[22:23]
	v_fma_f64 v[48:49], v[110:111], s[46:47], -v[48:49]
	v_add_f64 v[28:29], v[4:5], v[28:29]
	v_fma_f64 v[183:184], v[120:121], s[14:15], v[40:41]
	v_mul_f64 v[189:190], v[176:177], s[18:19]
	v_add_f64 v[22:23], v[42:43], v[26:27]
	v_fma_f64 v[26:27], v[146:147], s[34:35], v[38:39]
	v_mul_f64 v[42:43], v[134:135], s[20:21]
	v_add_f64 v[32:33], v[34:35], v[32:33]
	v_add_f64 v[34:35], v[48:49], v[36:37]
	v_fma_f64 v[36:37], v[108:109], s[18:19], -v[185:186]
	v_add_f64 v[28:29], v[183:184], v[28:29]
	v_fma_f64 v[48:49], v[88:89], s[22:23], v[189:190]
	v_mul_f64 v[183:184], v[170:171], s[36:37]
	v_add_f64 v[26:27], v[0:1], v[26:27]
	v_fma_f64 v[185:186], v[86:87], s[6:7], v[42:43]
	v_mul_f64 v[191:192], v[126:127], s[42:43]
	v_fma_f64 v[30:31], v[114:115], s[8:9], v[30:31]
	v_add_f64 v[34:35], v[36:37], v[34:35]
	v_fma_f64 v[36:37], v[116:117], s[0:1], -v[44:45]
	v_add_f64 v[28:29], v[48:49], v[28:29]
	v_fma_f64 v[44:45], v[92:93], s[52:53], v[183:184]
	v_mul_f64 v[48:49], v[172:173], s[0:1]
	v_add_f64 v[26:27], v[185:186], v[26:27]
	v_fma_f64 v[185:186], v[90:91], s[18:19], v[191:192]
	v_mul_f64 v[193:194], v[128:129], s[38:39]
	v_add_f64 v[30:31], v[30:31], v[32:33]
	v_add_f64 v[32:33], v[36:37], v[34:35]
	v_fma_f64 v[34:35], v[68:69], s[52:53], v[187:188]
	v_add_f64 v[36:37], v[44:45], v[28:29]
	v_fma_f64 v[28:29], v[150:151], s[40:41], v[46:47]
	v_fma_f64 v[44:45], v[106:107], s[12:13], v[48:49]
	v_add_f64 v[26:27], v[185:186], v[26:27]
	v_fma_f64 v[46:47], v[112:113], s[36:37], v[193:194]
	v_mul_f64 v[185:186], v[124:125], s[8:9]
	v_mul_f64 v[187:188], v[160:161], s[46:47]
	v_fma_f64 v[40:41], v[120:121], s[20:21], v[40:41]
	v_fma_f64 v[42:43], v[86:87], s[6:7], -v[42:43]
	v_add_f64 v[195:196], v[4:5], v[28:29]
	v_add_f64 v[28:29], v[34:35], v[30:31]
	v_fma_f64 v[34:35], v[146:147], s[34:35], -v[38:39]
	v_add_f64 v[30:31], v[44:45], v[36:37]
	v_add_f64 v[26:27], v[46:47], v[26:27]
	v_fma_f64 v[36:37], v[110:111], s[0:1], v[185:186]
	v_mul_f64 v[38:39], v[118:119], s[54:55]
	v_fma_f64 v[44:45], v[82:83], s[48:49], v[187:188]
	v_add_f64 v[40:41], v[40:41], v[195:196]
	v_fma_f64 v[46:47], v[88:89], s[42:43], v[189:190]
	v_mul_f64 v[189:190], v[152:153], s[24:25]
	v_add_f64 v[34:35], v[0:1], v[34:35]
	v_fma_f64 v[181:182], v[142:143], s[36:37], -v[181:182]
	v_add_f64 v[26:27], v[36:37], v[26:27]
	v_fma_f64 v[36:37], v[108:109], s[46:47], v[38:39]
	v_mul_f64 v[195:196], v[122:123], s[26:27]
	v_add_f64 v[30:31], v[44:45], v[30:31]
	v_add_f64 v[40:41], v[46:47], v[40:41]
	v_fma_f64 v[44:45], v[92:93], s[38:39], v[183:184]
	v_fma_f64 v[46:47], v[114:115], s[28:29], v[189:190]
	v_add_f64 v[34:35], v[42:43], v[34:35]
	v_fma_f64 v[42:43], v[90:91], s[18:19], -v[191:192]
	v_mul_f64 v[191:192], v[70:71], s[16:17]
	v_add_f64 v[36:37], v[36:37], v[26:27]
	v_fma_f64 v[183:184], v[116:117], s[24:25], v[195:196]
	v_add_f64 v[26:27], v[181:182], v[32:33]
	v_add_f64 v[32:33], v[44:45], v[40:41]
	v_fma_f64 v[40:41], v[106:107], s[8:9], v[48:49]
	v_add_f64 v[30:31], v[46:47], v[30:31]
	v_add_f64 v[34:35], v[42:43], v[34:35]
	v_fma_f64 v[42:43], v[112:113], s[36:37], -v[193:194]
	v_fma_f64 v[44:45], v[68:69], s[44:45], v[191:192]
	v_mul_f64 v[46:47], v[52:53], s[46:47]
	v_mul_f64 v[181:182], v[168:169], s[48:49]
	v_add_f64 v[36:37], v[183:184], v[36:37]
	v_add_f64 v[40:41], v[40:41], v[32:33]
	v_fma_f64 v[183:184], v[82:83], s[54:55], v[187:188]
	v_mul_f64 v[193:194], v[134:135], s[8:9]
	v_add_f64 v[34:35], v[42:43], v[34:35]
	v_fma_f64 v[42:43], v[110:111], s[0:1], -v[185:186]
	v_add_f64 v[32:33], v[44:45], v[30:31]
	v_fma_f64 v[30:31], v[150:151], s[54:55], v[46:47]
	v_mul_f64 v[44:45], v[178:179], s[0:1]
	v_fma_f64 v[187:188], v[146:147], s[46:47], v[181:182]
	v_mul_f64 v[48:49], v[144:145], s[30:31]
	v_add_f64 v[40:41], v[183:184], v[40:41]
	v_fma_f64 v[38:39], v[108:109], s[46:47], -v[38:39]
	v_add_f64 v[34:35], v[42:43], v[34:35]
	v_mul_f64 v[183:184], v[176:177], s[34:35]
	v_add_f64 v[30:31], v[4:5], v[30:31]
	v_fma_f64 v[42:43], v[120:121], s[12:13], v[44:45]
	v_add_f64 v[187:188], v[0:1], v[187:188]
	v_fma_f64 v[197:198], v[86:87], s[0:1], v[193:194]
	v_mul_f64 v[199:200], v[126:127], s[50:51]
	v_fma_f64 v[185:186], v[142:143], s[16:17], v[48:49]
	v_fma_f64 v[189:190], v[114:115], s[26:27], v[189:190]
	v_add_f64 v[34:35], v[38:39], v[34:35]
	v_fma_f64 v[38:39], v[116:117], s[24:25], -v[195:196]
	v_add_f64 v[42:43], v[42:43], v[30:31]
	v_fma_f64 v[195:196], v[88:89], s[40:41], v[183:184]
	v_mul_f64 v[201:202], v[170:171], s[24:25]
	v_add_f64 v[187:188], v[197:198], v[187:188]
	v_fma_f64 v[197:198], v[90:91], s[34:35], v[199:200]
	v_mul_f64 v[203:204], v[128:129], s[28:29]
	v_add_f64 v[30:31], v[185:186], v[36:37]
	v_add_f64 v[36:37], v[189:190], v[40:41]
	;; [unrolled: 1-line block ×4, first 2 shown]
	v_fma_f64 v[40:41], v[92:93], s[26:27], v[201:202]
	v_mul_f64 v[42:43], v[172:173], s[36:37]
	v_add_f64 v[185:186], v[197:198], v[187:188]
	v_fma_f64 v[187:188], v[112:113], s[24:25], v[203:204]
	v_mul_f64 v[189:190], v[124:125], s[38:39]
	v_fma_f64 v[46:47], v[150:151], s[48:49], v[46:47]
	v_fma_f64 v[191:192], v[68:69], s[30:31], v[191:192]
	v_mul_f64 v[197:198], v[160:161], s[6:7]
	v_add_f64 v[38:39], v[40:41], v[38:39]
	v_fma_f64 v[195:196], v[106:107], s[52:53], v[42:43]
	v_mul_f64 v[205:206], v[118:119], s[14:15]
	v_add_f64 v[185:186], v[187:188], v[185:186]
	v_fma_f64 v[187:188], v[110:111], s[36:37], v[189:190]
	v_fma_f64 v[44:45], v[120:121], s[8:9], v[44:45]
	v_add_f64 v[46:47], v[4:5], v[46:47]
	v_fma_f64 v[181:182], v[146:147], s[46:47], -v[181:182]
	v_add_f64 v[40:41], v[191:192], v[36:37]
	v_add_f64 v[36:37], v[195:196], v[38:39]
	v_fma_f64 v[38:39], v[82:83], s[20:21], v[197:198]
	v_mul_f64 v[191:192], v[152:153], s[16:17]
	v_add_f64 v[185:186], v[187:188], v[185:186]
	v_fma_f64 v[187:188], v[108:109], s[6:7], v[205:206]
	v_add_f64 v[44:45], v[44:45], v[46:47]
	v_fma_f64 v[46:47], v[88:89], s[50:51], v[183:184]
	v_mul_f64 v[183:184], v[122:123], s[44:45]
	v_fma_f64 v[193:194], v[86:87], s[0:1], -v[193:194]
	v_add_f64 v[181:182], v[0:1], v[181:182]
	v_fma_f64 v[48:49], v[142:143], s[16:17], -v[48:49]
	v_add_f64 v[36:37], v[38:39], v[36:37]
	v_fma_f64 v[38:39], v[114:115], s[30:31], v[191:192]
	v_add_f64 v[185:186], v[187:188], v[185:186]
	v_add_f64 v[44:45], v[46:47], v[44:45]
	v_fma_f64 v[46:47], v[92:93], s[28:29], v[201:202]
	v_fma_f64 v[187:188], v[116:117], s[16:17], v[183:184]
	v_add_f64 v[181:182], v[193:194], v[181:182]
	v_fma_f64 v[193:194], v[90:91], s[34:35], -v[199:200]
	v_mul_f64 v[201:202], v[52:53], s[36:37]
	v_add_f64 v[36:37], v[38:39], v[36:37]
	v_add_f64 v[38:39], v[48:49], v[34:35]
	v_fma_f64 v[42:43], v[106:107], s[38:39], v[42:43]
	v_add_f64 v[34:35], v[46:47], v[44:45]
	v_add_f64 v[44:45], v[187:188], v[185:186]
	v_fma_f64 v[48:49], v[112:113], s[24:25], -v[203:204]
	v_add_f64 v[46:47], v[193:194], v[181:182]
	v_fma_f64 v[181:182], v[150:151], s[52:53], v[201:202]
	v_mul_f64 v[185:186], v[178:179], s[16:17]
	v_mul_f64 v[193:194], v[168:169], s[38:39]
	;; [unrolled: 1-line block ×3, first 2 shown]
	v_add_f64 v[34:35], v[42:43], v[34:35]
	v_fma_f64 v[42:43], v[82:83], s[14:15], v[197:198]
	v_mul_f64 v[197:198], v[176:177], s[0:1]
	v_add_f64 v[46:47], v[48:49], v[46:47]
	v_fma_f64 v[48:49], v[110:111], s[36:37], -v[189:190]
	v_add_f64 v[181:182], v[4:5], v[181:182]
	v_fma_f64 v[189:190], v[120:121], s[44:45], v[185:186]
	v_mul_f64 v[203:204], v[134:135], s[30:31]
	v_fma_f64 v[199:200], v[68:69], s[22:23], v[195:196]
	v_add_f64 v[34:35], v[42:43], v[34:35]
	v_fma_f64 v[42:43], v[146:147], s[36:37], v[193:194]
	v_mul_f64 v[187:188], v[144:145], s[42:43]
	v_add_f64 v[46:47], v[48:49], v[46:47]
	v_fma_f64 v[48:49], v[108:109], s[6:7], -v[205:206]
	v_add_f64 v[181:182], v[189:190], v[181:182]
	v_fma_f64 v[189:190], v[88:89], s[8:9], v[197:198]
	v_mul_f64 v[205:206], v[170:171], s[34:35]
	v_fma_f64 v[191:192], v[114:115], s[44:45], v[191:192]
	v_add_f64 v[42:43], v[0:1], v[42:43]
	v_fma_f64 v[207:208], v[86:87], s[16:17], v[203:204]
	v_mul_f64 v[209:210], v[126:127], s[12:13]
	v_add_f64 v[46:47], v[48:49], v[46:47]
	v_fma_f64 v[48:49], v[116:117], s[16:17], -v[183:184]
	v_add_f64 v[181:182], v[189:190], v[181:182]
	v_fma_f64 v[183:184], v[92:93], s[40:41], v[205:206]
	v_mul_f64 v[189:190], v[172:173], s[18:19]
	v_add_f64 v[36:37], v[199:200], v[36:37]
	v_fma_f64 v[199:200], v[142:143], s[18:19], v[187:188]
	v_add_f64 v[191:192], v[191:192], v[34:35]
	v_add_f64 v[34:35], v[207:208], v[42:43]
	v_fma_f64 v[42:43], v[90:91], s[0:1], v[209:210]
	v_mul_f64 v[207:208], v[128:129], s[50:51]
	v_add_f64 v[181:182], v[183:184], v[181:182]
	v_fma_f64 v[183:184], v[106:107], s[22:23], v[189:190]
	v_add_f64 v[46:47], v[48:49], v[46:47]
	v_fma_f64 v[48:49], v[68:69], s[42:43], v[195:196]
	v_fma_f64 v[187:188], v[142:143], s[18:19], -v[187:188]
	v_mul_f64 v[195:196], v[160:161], s[24:25]
	v_add_f64 v[42:43], v[42:43], v[34:35]
	v_fma_f64 v[211:212], v[112:113], s[34:35], v[207:208]
	v_add_f64 v[34:35], v[199:200], v[44:45]
	v_mul_f64 v[199:200], v[124:125], s[42:43]
	v_add_f64 v[44:45], v[183:184], v[181:182]
	v_fma_f64 v[181:182], v[150:151], s[38:39], v[201:202]
	v_add_f64 v[48:49], v[48:49], v[191:192]
	v_fma_f64 v[183:184], v[82:83], s[28:29], v[195:196]
	v_add_f64 v[46:47], v[187:188], v[46:47]
	v_add_f64 v[42:43], v[211:212], v[42:43]
	v_fma_f64 v[187:188], v[146:147], s[36:37], -v[193:194]
	v_fma_f64 v[191:192], v[110:111], s[18:19], v[199:200]
	v_mul_f64 v[193:194], v[118:119], s[26:27]
	v_fma_f64 v[185:186], v[120:121], s[30:31], v[185:186]
	v_add_f64 v[181:182], v[4:5], v[181:182]
	v_add_f64 v[44:45], v[183:184], v[44:45]
	v_mul_f64 v[183:184], v[152:153], s[46:47]
	v_fma_f64 v[201:202], v[86:87], s[16:17], -v[203:204]
	v_add_f64 v[187:188], v[0:1], v[187:188]
	v_add_f64 v[42:43], v[191:192], v[42:43]
	v_fma_f64 v[191:192], v[108:109], s[24:25], v[193:194]
	v_mul_f64 v[203:204], v[122:123], s[48:49]
	v_add_f64 v[181:182], v[185:186], v[181:182]
	v_fma_f64 v[185:186], v[88:89], s[12:13], v[197:198]
	v_fma_f64 v[197:198], v[114:115], s[54:55], v[183:184]
	v_mul_f64 v[211:212], v[70:71], s[6:7]
	v_add_f64 v[187:188], v[201:202], v[187:188]
	v_fma_f64 v[201:202], v[90:91], s[0:1], -v[209:210]
	v_add_f64 v[42:43], v[191:192], v[42:43]
	v_fma_f64 v[191:192], v[116:117], s[46:47], v[203:204]
	v_mul_f64 v[209:210], v[52:53], s[18:19]
	v_add_f64 v[181:182], v[185:186], v[181:182]
	v_fma_f64 v[185:186], v[92:93], s[50:51], v[205:206]
	v_add_f64 v[44:45], v[197:198], v[44:45]
	v_fma_f64 v[197:198], v[68:69], s[20:21], v[211:212]
	v_add_f64 v[187:188], v[201:202], v[187:188]
	v_fma_f64 v[201:202], v[112:113], s[34:35], -v[207:208]
	v_add_f64 v[42:43], v[191:192], v[42:43]
	v_fma_f64 v[191:192], v[150:151], s[42:43], v[209:210]
	v_mul_f64 v[205:206], v[178:179], s[46:47]
	v_add_f64 v[181:182], v[185:186], v[181:182]
	v_fma_f64 v[185:186], v[106:107], s[42:43], v[189:190]
	v_add_f64 v[44:45], v[197:198], v[44:45]
	v_mul_f64 v[189:190], v[144:145], s[14:15]
	v_add_f64 v[187:188], v[201:202], v[187:188]
	v_fma_f64 v[197:198], v[110:111], s[18:19], -v[199:200]
	v_add_f64 v[191:192], v[4:5], v[191:192]
	v_fma_f64 v[199:200], v[120:121], s[54:55], v[205:206]
	v_mul_f64 v[201:202], v[176:177], s[16:17]
	v_add_f64 v[181:182], v[185:186], v[181:182]
	v_fma_f64 v[185:186], v[82:83], s[26:27], v[195:196]
	v_mul_f64 v[195:196], v[168:169], s[22:23]
	v_fma_f64 v[207:208], v[142:143], s[6:7], v[189:190]
	v_add_f64 v[187:188], v[197:198], v[187:188]
	v_fma_f64 v[193:194], v[108:109], s[24:25], -v[193:194]
	v_add_f64 v[191:192], v[199:200], v[191:192]
	v_fma_f64 v[197:198], v[88:89], s[44:45], v[201:202]
	v_mul_f64 v[199:200], v[170:171], s[0:1]
	v_add_f64 v[181:182], v[185:186], v[181:182]
	v_fma_f64 v[185:186], v[146:147], s[18:19], v[195:196]
	v_mul_f64 v[213:214], v[134:135], s[48:49]
	v_fma_f64 v[183:184], v[114:115], s[48:49], v[183:184]
	v_add_f64 v[187:188], v[193:194], v[187:188]
	v_fma_f64 v[193:194], v[116:117], s[46:47], -v[203:204]
	v_add_f64 v[191:192], v[197:198], v[191:192]
	v_fma_f64 v[197:198], v[92:93], s[12:13], v[199:200]
	v_mul_f64 v[203:204], v[172:173], s[6:7]
	v_add_f64 v[185:186], v[0:1], v[185:186]
	v_fma_f64 v[215:216], v[86:87], s[46:47], v[213:214]
	v_add_f64 v[42:43], v[207:208], v[42:43]
	v_mul_f64 v[207:208], v[126:127], s[30:31]
	v_add_f64 v[181:182], v[183:184], v[181:182]
	v_add_f64 v[187:188], v[193:194], v[187:188]
	;; [unrolled: 1-line block ×3, first 2 shown]
	v_fma_f64 v[191:192], v[106:107], s[14:15], v[203:204]
	v_fma_f64 v[193:194], v[68:69], s[14:15], v[211:212]
	v_add_f64 v[185:186], v[215:216], v[185:186]
	v_fma_f64 v[197:198], v[150:151], s[22:23], v[209:210]
	v_fma_f64 v[209:210], v[90:91], s[16:17], v[207:208]
	v_mul_f64 v[211:212], v[128:129], s[8:9]
	v_mul_f64 v[215:216], v[160:161], s[34:35]
	v_fma_f64 v[213:214], v[86:87], s[46:47], -v[213:214]
	v_add_f64 v[183:184], v[191:192], v[183:184]
	v_fma_f64 v[191:192], v[146:147], s[18:19], -v[195:196]
	v_fma_f64 v[195:196], v[120:121], s[48:49], v[205:206]
	v_add_f64 v[197:198], v[4:5], v[197:198]
	v_add_f64 v[185:186], v[209:210], v[185:186]
	v_fma_f64 v[205:206], v[112:113], s[0:1], v[211:212]
	v_mul_f64 v[209:210], v[124:125], s[20:21]
	v_fma_f64 v[217:218], v[82:83], s[40:41], v[215:216]
	v_mul_f64 v[219:220], v[152:153], s[36:37]
	v_add_f64 v[191:192], v[0:1], v[191:192]
	v_fma_f64 v[211:212], v[112:113], s[0:1], -v[211:212]
	v_add_f64 v[195:196], v[195:196], v[197:198]
	v_fma_f64 v[197:198], v[88:89], s[30:31], v[201:202]
	v_add_f64 v[185:186], v[205:206], v[185:186]
	v_fma_f64 v[201:202], v[110:111], s[6:7], v[209:210]
	v_mul_f64 v[205:206], v[118:119], s[50:51]
	v_add_f64 v[217:218], v[217:218], v[183:184]
	v_add_f64 v[183:184], v[213:214], v[191:192]
	v_fma_f64 v[191:192], v[90:91], s[16:17], -v[207:208]
	v_fma_f64 v[207:208], v[114:115], s[38:39], v[219:220]
	v_add_f64 v[195:196], v[197:198], v[195:196]
	v_fma_f64 v[197:198], v[92:93], s[8:9], v[199:200]
	v_add_f64 v[185:186], v[201:202], v[185:186]
	v_fma_f64 v[199:200], v[108:109], s[34:35], v[205:206]
	v_mul_f64 v[213:214], v[70:71], s[24:25]
	v_add_f64 v[174:175], v[0:1], v[174:175]
	v_add_f64 v[191:192], v[191:192], v[183:184]
	;; [unrolled: 1-line block ×3, first 2 shown]
	v_mul_f64 v[201:202], v[122:123], s[52:53]
	v_add_f64 v[181:182], v[197:198], v[195:196]
	v_add_f64 v[195:196], v[207:208], v[217:218]
	;; [unrolled: 1-line block ×3, first 2 shown]
	v_fma_f64 v[199:200], v[68:69], s[26:27], v[213:214]
	v_add_f64 v[166:167], v[166:167], v[174:175]
	v_add_f64 v[191:192], v[211:212], v[191:192]
	v_mul_f64 v[211:212], v[52:53], s[24:25]
	v_fma_f64 v[189:190], v[142:143], s[6:7], -v[189:190]
	v_fma_f64 v[193:194], v[106:107], s[20:21], v[203:204]
	v_fma_f64 v[203:204], v[110:111], s[6:7], -v[209:210]
	v_fma_f64 v[197:198], v[116:117], s[36:37], v[201:202]
	v_add_f64 v[52:53], v[199:200], v[195:196]
	v_add_f64 v[199:200], v[4:5], v[50:51]
	;; [unrolled: 1-line block ×3, first 2 shown]
	v_mul_f64 v[207:208], v[144:145], s[28:29]
	v_fma_f64 v[209:210], v[82:83], s[50:51], v[215:216]
	v_add_f64 v[193:194], v[193:194], v[181:182]
	v_add_f64 v[181:182], v[189:190], v[187:188]
	v_add_f64 v[187:188], v[203:204], v[191:192]
	v_fma_f64 v[189:190], v[108:109], s[34:35], -v[205:206]
	v_add_f64 v[164:165], v[164:165], v[199:200]
	v_add_f64 v[140:141], v[140:141], v[154:155]
	;; [unrolled: 1-line block ×3, first 2 shown]
	v_fma_f64 v[191:192], v[142:143], s[24:25], v[207:208]
	v_fma_f64 v[195:196], v[150:151], s[28:29], v[211:212]
	v_mul_f64 v[178:179], v[178:179], s[18:19]
	v_add_f64 v[193:194], v[209:210], v[193:194]
	v_fma_f64 v[197:198], v[114:115], s[52:53], v[219:220]
	v_add_f64 v[148:149], v[148:149], v[164:165]
	v_add_f64 v[187:188], v[189:190], v[187:188]
	v_fma_f64 v[189:190], v[116:117], s[36:37], -v[201:202]
	v_add_f64 v[50:51], v[191:192], v[185:186]
	v_add_f64 v[185:186], v[4:5], v[195:196]
	v_fma_f64 v[191:192], v[120:121], s[42:43], v[178:179]
	v_mul_f64 v[176:177], v[176:177], s[36:37]
	v_add_f64 v[174:175], v[197:198], v[193:194]
	v_add_f64 v[138:139], v[138:139], v[148:149]
	v_mul_f64 v[168:169], v[168:169], s[26:27]
	v_add_f64 v[187:188], v[189:190], v[187:188]
	v_fma_f64 v[189:190], v[68:69], s[28:29], v[213:214]
	v_fma_f64 v[150:151], v[150:151], s[26:27], v[211:212]
	v_add_f64 v[185:186], v[191:192], v[185:186]
	v_fma_f64 v[191:192], v[88:89], s[52:53], v[176:177]
	v_mul_f64 v[170:171], v[170:171], s[46:47]
	v_add_f64 v[136:137], v[136:137], v[138:139]
	v_add_f64 v[138:139], v[162:163], v[140:141]
	v_mul_f64 v[134:135], v[134:135], s[22:23]
	v_add_f64 v[166:167], v[189:190], v[174:175]
	v_fma_f64 v[174:175], v[146:147], s[24:25], v[168:169]
	v_fma_f64 v[146:147], v[146:147], s[24:25], -v[168:169]
	v_add_f64 v[4:5], v[4:5], v[150:151]
	v_fma_f64 v[120:121], v[120:121], s[22:23], v[178:179]
	v_add_f64 v[130:131], v[130:131], v[136:137]
	v_add_f64 v[132:133], v[132:133], v[138:139]
	;; [unrolled: 1-line block ×3, first 2 shown]
	v_fma_f64 v[148:149], v[92:93], s[54:55], v[170:171]
	v_mul_f64 v[154:155], v[172:173], s[34:35]
	v_add_f64 v[150:151], v[0:1], v[174:175]
	v_add_f64 v[0:1], v[0:1], v[146:147]
	v_mul_f64 v[126:127], v[126:127], s[38:39]
	v_add_f64 v[96:97], v[96:97], v[130:131]
	v_add_f64 v[94:95], v[94:95], v[132:133]
	v_fma_f64 v[130:131], v[86:87], s[18:19], v[134:135]
	v_fma_f64 v[86:87], v[86:87], s[18:19], -v[134:135]
	v_fma_f64 v[88:89], v[88:89], s[38:39], v[176:177]
	v_add_f64 v[4:5], v[120:121], v[4:5]
	v_add_f64 v[140:141], v[148:149], v[185:186]
	v_fma_f64 v[148:149], v[106:107], s[50:51], v[154:155]
	v_add_f64 v[96:97], v[102:103], v[96:97]
	v_add_f64 v[94:95], v[104:105], v[94:95]
	v_mul_f64 v[160:161], v[160:161], s[16:17]
	v_add_f64 v[102:103], v[130:131], v[150:151]
	v_fma_f64 v[104:105], v[90:91], s[36:37], v[126:127]
	v_mul_f64 v[128:129], v[128:129], s[48:49]
	v_fma_f64 v[90:91], v[90:91], s[36:37], -v[126:127]
	v_add_f64 v[0:1], v[86:87], v[0:1]
	v_add_f64 v[96:97], v[156:157], v[96:97]
	;; [unrolled: 1-line block ×3, first 2 shown]
	v_fma_f64 v[92:93], v[92:93], s[48:49], v[170:171]
	v_add_f64 v[4:5], v[88:89], v[4:5]
	v_add_f64 v[136:137], v[148:149], v[140:141]
	v_fma_f64 v[138:139], v[82:83], s[44:45], v[160:161]
	v_mul_f64 v[140:141], v[152:153], s[6:7]
	v_add_f64 v[102:103], v[104:105], v[102:103]
	v_add_f64 v[80:81], v[80:81], v[96:97]
	;; [unrolled: 1-line block ×3, first 2 shown]
	v_fma_f64 v[104:105], v[112:113], s[46:47], v[128:129]
	v_mul_f64 v[86:87], v[124:125], s[40:41]
	v_fma_f64 v[96:97], v[112:113], s[46:47], -v[128:129]
	v_add_f64 v[0:1], v[90:91], v[0:1]
	v_fma_f64 v[94:95], v[106:107], s[40:41], v[154:155]
	v_add_f64 v[4:5], v[92:93], v[4:5]
	v_add_f64 v[80:81], v[84:85], v[80:81]
	;; [unrolled: 1-line block ×4, first 2 shown]
	v_fma_f64 v[136:137], v[114:115], s[20:21], v[140:141]
	v_mul_f64 v[70:71], v[70:71], s[0:1]
	v_add_f64 v[88:89], v[104:105], v[102:103]
	v_fma_f64 v[84:85], v[110:111], s[34:35], v[86:87]
	v_fma_f64 v[78:79], v[110:111], s[34:35], -v[86:87]
	v_mul_f64 v[86:87], v[118:119], s[30:31]
	v_add_f64 v[0:1], v[96:97], v[0:1]
	v_add_f64 v[74:75], v[76:77], v[74:75]
	v_fma_f64 v[76:77], v[82:83], s[30:31], v[160:161]
	v_add_f64 v[4:5], v[94:95], v[4:5]
	v_add_f64 v[80:81], v[66:67], v[80:81]
	;; [unrolled: 1-line block ×3, first 2 shown]
	v_fma_f64 v[90:91], v[68:69], s[12:13], v[70:71]
	v_add_f64 v[84:85], v[84:85], v[88:89]
	v_mul_f64 v[82:83], v[122:123], s[14:15]
	v_fma_f64 v[88:89], v[108:109], s[16:17], v[86:87]
	v_fma_f64 v[86:87], v[108:109], s[16:17], -v[86:87]
	v_add_f64 v[0:1], v[78:79], v[0:1]
	v_add_f64 v[72:73], v[72:73], v[74:75]
	v_fma_f64 v[74:75], v[114:115], s[14:15], v[140:141]
	v_add_f64 v[4:5], v[76:77], v[4:5]
	v_add_f64 v[64:65], v[64:65], v[80:81]
	;; [unrolled: 1-line block ×3, first 2 shown]
	v_mul_f64 v[90:91], v[144:145], s[8:9]
	v_fma_f64 v[76:77], v[116:117], s[6:7], -v[82:83]
	v_add_f64 v[0:1], v[86:87], v[0:1]
	v_add_f64 v[62:63], v[62:63], v[72:73]
	v_fma_f64 v[68:69], v[68:69], s[8:9], v[70:71]
	v_add_f64 v[4:5], v[74:75], v[4:5]
	v_add_f64 v[60:61], v[60:61], v[64:65]
	v_mul_lo_u32 v146, s5, v100
	v_fma_f64 v[64:65], v[142:143], s[0:1], v[90:91]
	v_fma_f64 v[70:71], v[142:143], s[0:1], -v[90:91]
	v_mad_u64_u32 v[72:73], s[0:1], s2, v180, 0
	v_add_f64 v[0:1], v[76:77], v[0:1]
	v_add_f64 v[62:63], v[58:59], v[62:63]
	v_mul_lo_u32 v147, s4, v101
	v_mad_u64_u32 v[100:101], s[4:5], s4, v100, 0
	v_add_f64 v[58:59], v[68:69], v[4:5]
	v_mov_b32_e32 v4, v73
	v_mad_u64_u32 v[4:5], s[0:1], s3, v180, v[4:5]
	v_add_f64 v[60:61], v[56:57], v[60:61]
	v_add3_u32 v101, v101, v147, v146
	v_mov_b32_e32 v73, v4
	v_lshlrev_b64 v[4:5], 4, v[100:101]
	v_add_f64 v[56:57], v[70:71], v[0:1]
	v_add_f64 v[0:1], v[54:55], v[62:63]
	v_mov_b32_e32 v54, s11
	v_add_co_u32_e32 v55, vcc, s10, v4
	v_addc_co_u32_e32 v54, vcc, v54, v5, vcc
	v_lshlrev_b64 v[4:5], 4, v[98:99]
	v_add_f64 v[2:3], v[2:3], v[60:61]
	v_add_co_u32_e32 v63, vcc, v55, v4
	v_or_b32_e32 v60, 16, v180
	v_addc_co_u32_e32 v68, vcc, v54, v5, vcc
	v_mad_u64_u32 v[54:55], s[0:1], s2, v60, 0
	v_or_b32_e32 v69, 32, v180
	v_lshlrev_b64 v[4:5], 4, v[72:73]
	v_mad_u64_u32 v[60:61], s[0:1], s3, v60, v[55:56]
	v_mad_u64_u32 v[61:62], s[0:1], s2, v69, 0
	v_fma_f64 v[164:165], v[142:143], s[24:25], -v[207:208]
	v_add_co_u32_e32 v4, vcc, v63, v4
	v_addc_co_u32_e32 v5, vcc, v68, v5, vcc
	global_store_dwordx4 v[4:5], v[0:3], off
	v_or_b32_e32 v4, 48, v180
	v_mov_b32_e32 v2, v62
	v_mad_u64_u32 v[2:3], s[0:1], s3, v69, v[2:3]
	v_mov_b32_e32 v55, v60
	v_add_f64 v[164:165], v[164:165], v[187:188]
	v_mov_b32_e32 v62, v2
	v_mad_u64_u32 v[2:3], s[0:1], s2, v4, 0
	v_lshlrev_b64 v[0:1], 4, v[54:55]
	v_or_b32_e32 v54, 64, v180
	v_add_co_u32_e32 v0, vcc, v63, v0
	v_addc_co_u32_e32 v1, vcc, v68, v1, vcc
	v_mad_u64_u32 v[3:4], s[0:1], s3, v4, v[3:4]
	global_store_dwordx4 v[0:1], v[56:59], off
	v_lshlrev_b64 v[0:1], 4, v[61:62]
	v_mad_u64_u32 v[4:5], s[0:1], s2, v54, 0
	v_add_co_u32_e32 v0, vcc, v63, v0
	v_addc_co_u32_e32 v1, vcc, v68, v1, vcc
	global_store_dwordx4 v[0:1], v[164:167], off
	v_lshlrev_b64 v[0:1], 4, v[2:3]
	v_mov_b32_e32 v2, v5
	v_mad_u64_u32 v[2:3], s[0:1], s3, v54, v[2:3]
	v_add_co_u32_e32 v0, vcc, v63, v0
	v_addc_co_u32_e32 v1, vcc, v68, v1, vcc
	v_mov_b32_e32 v5, v2
	global_store_dwordx4 v[0:1], v[181:184], off
	v_lshlrev_b64 v[0:1], 4, v[4:5]
	v_or_b32_e32 v4, 0x50, v180
	v_mad_u64_u32 v[2:3], s[0:1], s2, v4, 0
	v_or_b32_e32 v54, 0x60, v180
	v_add_co_u32_e32 v0, vcc, v63, v0
	v_mad_u64_u32 v[3:4], s[0:1], s3, v4, v[3:4]
	v_mad_u64_u32 v[4:5], s[0:1], s2, v54, 0
	v_addc_co_u32_e32 v1, vcc, v68, v1, vcc
	global_store_dwordx4 v[0:1], v[46:49], off
	v_lshlrev_b64 v[0:1], 4, v[2:3]
	v_mov_b32_e32 v2, v5
	v_mad_u64_u32 v[2:3], s[0:1], s3, v54, v[2:3]
	v_add_co_u32_e32 v0, vcc, v63, v0
	v_addc_co_u32_e32 v1, vcc, v68, v1, vcc
	v_mov_b32_e32 v5, v2
	global_store_dwordx4 v[0:1], v[38:41], off
	v_lshlrev_b64 v[0:1], 4, v[4:5]
	v_or_b32_e32 v4, 0x70, v180
	v_mad_u64_u32 v[2:3], s[0:1], s2, v4, 0
	v_or_b32_e32 v38, 0x80, v180
	v_add_co_u32_e32 v0, vcc, v63, v0
	v_mad_u64_u32 v[3:4], s[0:1], s3, v4, v[3:4]
	v_mad_u64_u32 v[4:5], s[0:1], s2, v38, 0
	;; [unrolled: 16-line block ×5, first 2 shown]
	v_addc_co_u32_e32 v1, vcc, v68, v1, vcc
	global_store_dwordx4 v[0:1], v[30:33], off
	v_lshlrev_b64 v[0:1], 4, v[2:3]
	v_mov_b32_e32 v2, v5
	v_mad_u64_u32 v[2:3], s[0:1], s3, v6, v[2:3]
	v_fma_f64 v[78:79], v[116:117], s[6:7], v[82:83]
	v_add_f64 v[80:81], v[88:89], v[84:85]
	v_add_co_u32_e32 v0, vcc, v63, v0
	v_addc_co_u32_e32 v1, vcc, v68, v1, vcc
	v_mov_b32_e32 v5, v2
	global_store_dwordx4 v[0:1], v[34:37], off
	v_lshlrev_b64 v[0:1], 4, v[4:5]
	v_or_b32_e32 v4, 0xf0, v180
	v_mad_u64_u32 v[2:3], s[0:1], s2, v4, 0
	v_add_f64 v[78:79], v[78:79], v[80:81]
	v_or_b32_e32 v6, 0x100, v180
	v_mad_u64_u32 v[3:4], s[0:1], s3, v4, v[3:4]
	v_mad_u64_u32 v[4:5], s[0:1], s2, v6, 0
	v_add_co_u32_e32 v0, vcc, v63, v0
	v_addc_co_u32_e32 v1, vcc, v68, v1, vcc
	global_store_dwordx4 v[0:1], v[42:45], off
	v_lshlrev_b64 v[0:1], 4, v[2:3]
	v_mov_b32_e32 v2, v5
	v_mad_u64_u32 v[2:3], s[0:1], s3, v6, v[2:3]
	v_add_f64 v[64:65], v[64:65], v[78:79]
	v_add_co_u32_e32 v0, vcc, v63, v0
	v_addc_co_u32_e32 v1, vcc, v68, v1, vcc
	v_mov_b32_e32 v5, v2
	global_store_dwordx4 v[0:1], v[50:53], off
	v_lshlrev_b64 v[0:1], 4, v[4:5]
	v_add_co_u32_e32 v0, vcc, v63, v0
	v_addc_co_u32_e32 v1, vcc, v68, v1, vcc
	global_store_dwordx4 v[0:1], v[64:67], off
.LBB0_18:
	s_endpgm
	.section	.rodata,"a",@progbits
	.p2align	6, 0x0
	.amdhsa_kernel fft_rtc_fwd_len272_factors_16_17_wgs_119_tpt_17_halfLds_dp_op_CI_CI_sbrr_dirReg
		.amdhsa_group_segment_fixed_size 0
		.amdhsa_private_segment_fixed_size 0
		.amdhsa_kernarg_size 104
		.amdhsa_user_sgpr_count 6
		.amdhsa_user_sgpr_private_segment_buffer 1
		.amdhsa_user_sgpr_dispatch_ptr 0
		.amdhsa_user_sgpr_queue_ptr 0
		.amdhsa_user_sgpr_kernarg_segment_ptr 1
		.amdhsa_user_sgpr_dispatch_id 0
		.amdhsa_user_sgpr_flat_scratch_init 0
		.amdhsa_user_sgpr_private_segment_size 0
		.amdhsa_uses_dynamic_stack 0
		.amdhsa_system_sgpr_private_segment_wavefront_offset 0
		.amdhsa_system_sgpr_workgroup_id_x 1
		.amdhsa_system_sgpr_workgroup_id_y 0
		.amdhsa_system_sgpr_workgroup_id_z 0
		.amdhsa_system_sgpr_workgroup_info 0
		.amdhsa_system_vgpr_workitem_id 0
		.amdhsa_next_free_vgpr 221
		.amdhsa_next_free_sgpr 56
		.amdhsa_reserve_vcc 1
		.amdhsa_reserve_flat_scratch 0
		.amdhsa_float_round_mode_32 0
		.amdhsa_float_round_mode_16_64 0
		.amdhsa_float_denorm_mode_32 3
		.amdhsa_float_denorm_mode_16_64 3
		.amdhsa_dx10_clamp 1
		.amdhsa_ieee_mode 1
		.amdhsa_fp16_overflow 0
		.amdhsa_exception_fp_ieee_invalid_op 0
		.amdhsa_exception_fp_denorm_src 0
		.amdhsa_exception_fp_ieee_div_zero 0
		.amdhsa_exception_fp_ieee_overflow 0
		.amdhsa_exception_fp_ieee_underflow 0
		.amdhsa_exception_fp_ieee_inexact 0
		.amdhsa_exception_int_div_zero 0
	.end_amdhsa_kernel
	.text
.Lfunc_end0:
	.size	fft_rtc_fwd_len272_factors_16_17_wgs_119_tpt_17_halfLds_dp_op_CI_CI_sbrr_dirReg, .Lfunc_end0-fft_rtc_fwd_len272_factors_16_17_wgs_119_tpt_17_halfLds_dp_op_CI_CI_sbrr_dirReg
                                        ; -- End function
	.section	.AMDGPU.csdata,"",@progbits
; Kernel info:
; codeLenInByte = 12032
; NumSgprs: 60
; NumVgprs: 221
; ScratchSize: 0
; MemoryBound: 1
; FloatMode: 240
; IeeeMode: 1
; LDSByteSize: 0 bytes/workgroup (compile time only)
; SGPRBlocks: 7
; VGPRBlocks: 55
; NumSGPRsForWavesPerEU: 60
; NumVGPRsForWavesPerEU: 221
; Occupancy: 1
; WaveLimiterHint : 1
; COMPUTE_PGM_RSRC2:SCRATCH_EN: 0
; COMPUTE_PGM_RSRC2:USER_SGPR: 6
; COMPUTE_PGM_RSRC2:TRAP_HANDLER: 0
; COMPUTE_PGM_RSRC2:TGID_X_EN: 1
; COMPUTE_PGM_RSRC2:TGID_Y_EN: 0
; COMPUTE_PGM_RSRC2:TGID_Z_EN: 0
; COMPUTE_PGM_RSRC2:TIDIG_COMP_CNT: 0
	.type	__hip_cuid_53c3e103b6d2e0f,@object ; @__hip_cuid_53c3e103b6d2e0f
	.section	.bss,"aw",@nobits
	.globl	__hip_cuid_53c3e103b6d2e0f
__hip_cuid_53c3e103b6d2e0f:
	.byte	0                               ; 0x0
	.size	__hip_cuid_53c3e103b6d2e0f, 1

	.ident	"AMD clang version 19.0.0git (https://github.com/RadeonOpenCompute/llvm-project roc-6.4.0 25133 c7fe45cf4b819c5991fe208aaa96edf142730f1d)"
	.section	".note.GNU-stack","",@progbits
	.addrsig
	.addrsig_sym __hip_cuid_53c3e103b6d2e0f
	.amdgpu_metadata
---
amdhsa.kernels:
  - .args:
      - .actual_access:  read_only
        .address_space:  global
        .offset:         0
        .size:           8
        .value_kind:     global_buffer
      - .offset:         8
        .size:           8
        .value_kind:     by_value
      - .actual_access:  read_only
        .address_space:  global
        .offset:         16
        .size:           8
        .value_kind:     global_buffer
      - .actual_access:  read_only
        .address_space:  global
        .offset:         24
        .size:           8
        .value_kind:     global_buffer
      - .actual_access:  read_only
        .address_space:  global
        .offset:         32
        .size:           8
        .value_kind:     global_buffer
      - .offset:         40
        .size:           8
        .value_kind:     by_value
      - .actual_access:  read_only
        .address_space:  global
        .offset:         48
        .size:           8
        .value_kind:     global_buffer
      - .actual_access:  read_only
        .address_space:  global
        .offset:         56
        .size:           8
        .value_kind:     global_buffer
      - .offset:         64
        .size:           4
        .value_kind:     by_value
      - .actual_access:  read_only
        .address_space:  global
        .offset:         72
        .size:           8
        .value_kind:     global_buffer
      - .actual_access:  read_only
        .address_space:  global
        .offset:         80
        .size:           8
        .value_kind:     global_buffer
      - .actual_access:  read_only
        .address_space:  global
        .offset:         88
        .size:           8
        .value_kind:     global_buffer
      - .actual_access:  write_only
        .address_space:  global
        .offset:         96
        .size:           8
        .value_kind:     global_buffer
    .group_segment_fixed_size: 0
    .kernarg_segment_align: 8
    .kernarg_segment_size: 104
    .language:       OpenCL C
    .language_version:
      - 2
      - 0
    .max_flat_workgroup_size: 119
    .name:           fft_rtc_fwd_len272_factors_16_17_wgs_119_tpt_17_halfLds_dp_op_CI_CI_sbrr_dirReg
    .private_segment_fixed_size: 0
    .sgpr_count:     60
    .sgpr_spill_count: 0
    .symbol:         fft_rtc_fwd_len272_factors_16_17_wgs_119_tpt_17_halfLds_dp_op_CI_CI_sbrr_dirReg.kd
    .uniform_work_group_size: 1
    .uses_dynamic_stack: false
    .vgpr_count:     221
    .vgpr_spill_count: 0
    .wavefront_size: 64
amdhsa.target:   amdgcn-amd-amdhsa--gfx906
amdhsa.version:
  - 1
  - 2
...

	.end_amdgpu_metadata
